;; amdgpu-corpus repo=ROCm/rocFFT kind=compiled arch=gfx1201 opt=O3
	.text
	.amdgcn_target "amdgcn-amd-amdhsa--gfx1201"
	.amdhsa_code_object_version 6
	.protected	bluestein_single_back_len1750_dim1_sp_op_CI_CI ; -- Begin function bluestein_single_back_len1750_dim1_sp_op_CI_CI
	.globl	bluestein_single_back_len1750_dim1_sp_op_CI_CI
	.p2align	8
	.type	bluestein_single_back_len1750_dim1_sp_op_CI_CI,@function
bluestein_single_back_len1750_dim1_sp_op_CI_CI: ; @bluestein_single_back_len1750_dim1_sp_op_CI_CI
; %bb.0:
	s_load_b128 s[12:15], s[0:1], 0x28
	v_mul_u32_u24_e32 v1, 0x177, v0
	s_mov_b32 s2, exec_lo
	v_mov_b32_e32 v81, 0
	s_delay_alu instid0(VALU_DEP_2) | instskip(NEXT) | instid1(VALU_DEP_1)
	v_lshrrev_b32_e32 v1, 16, v1
	v_add_nc_u32_e32 v80, ttmp9, v1
	s_wait_kmcnt 0x0
	s_delay_alu instid0(VALU_DEP_1)
	v_cmpx_gt_u64_e64 s[12:13], v[80:81]
	s_cbranch_execz .LBB0_10
; %bb.1:
	s_clause 0x1
	s_load_b128 s[4:7], s[0:1], 0x18
	s_load_b128 s[8:11], s[0:1], 0x0
	v_mul_lo_u16 v1, 0xaf, v1
	s_movk_i32 s2, 0xea20
	s_mov_b32 s3, -1
	s_load_b64 s[0:1], s[0:1], 0x38
	s_delay_alu instid0(VALU_DEP_1) | instskip(NEXT) | instid1(VALU_DEP_1)
	v_sub_nc_u16 v32, v0, v1
	v_and_b32_e32 v107, 0xffff, v32
	v_lshlrev_b16 v24, 1, v32
	s_delay_alu instid0(VALU_DEP_2)
	v_lshlrev_b32_e32 v108, 3, v107
	s_wait_kmcnt 0x0
	s_load_b128 s[16:19], s[4:5], 0x0
	s_clause 0x7
	global_load_b64 v[95:96], v108, s[8:9] offset:7000
	global_load_b64 v[81:82], v108, s[8:9] offset:8400
	;; [unrolled: 1-line block ×3, first 2 shown]
	global_load_b64 v[99:100], v108, s[8:9]
	global_load_b64 v[91:92], v108, s[8:9] offset:1400
	global_load_b64 v[89:90], v108, s[8:9] offset:2800
	;; [unrolled: 1-line block ×4, first 2 shown]
	v_add_nc_u32_e32 v34, 0x2000, v108
	s_wait_kmcnt 0x0
	v_mad_co_u64_u32 v[0:1], null, s18, v80, 0
	v_mad_co_u64_u32 v[2:3], null, s16, v107, 0
	s_mul_u64 s[4:5], s[16:17], 0x1b58
	s_mul_u64 s[2:3], s[16:17], s[2:3]
	s_delay_alu instid0(VALU_DEP_1) | instskip(NEXT) | instid1(VALU_DEP_1)
	v_mad_co_u64_u32 v[4:5], null, s19, v80, v[1:2]
	v_mad_co_u64_u32 v[5:6], null, s17, v107, v[3:4]
	v_mov_b32_e32 v1, v4
	s_delay_alu instid0(VALU_DEP_1) | instskip(NEXT) | instid1(VALU_DEP_3)
	v_lshlrev_b64_e32 v[0:1], 3, v[0:1]
	v_mov_b32_e32 v3, v5
	s_delay_alu instid0(VALU_DEP_2) | instskip(NEXT) | instid1(VALU_DEP_2)
	v_add_co_u32 v0, vcc_lo, s14, v0
	v_lshlrev_b64_e32 v[2:3], 3, v[2:3]
	s_delay_alu instid0(VALU_DEP_4) | instskip(NEXT) | instid1(VALU_DEP_2)
	v_add_co_ci_u32_e32 v1, vcc_lo, s15, v1, vcc_lo
	v_add_co_u32 v0, vcc_lo, v0, v2
	s_wait_alu 0xfffd
	s_delay_alu instid0(VALU_DEP_2) | instskip(NEXT) | instid1(VALU_DEP_2)
	v_add_co_ci_u32_e32 v1, vcc_lo, v1, v3, vcc_lo
	v_add_co_u32 v2, vcc_lo, v0, s4
	s_wait_alu 0xfffd
	s_delay_alu instid0(VALU_DEP_2) | instskip(NEXT) | instid1(VALU_DEP_2)
	v_add_co_ci_u32_e32 v3, vcc_lo, s5, v1, vcc_lo
	v_add_co_u32 v4, vcc_lo, v2, s2
	s_wait_alu 0xfffd
	s_delay_alu instid0(VALU_DEP_2)
	v_add_co_ci_u32_e32 v5, vcc_lo, s3, v3, vcc_lo
	s_clause 0x1
	global_load_b64 v[0:1], v[0:1], off
	global_load_b64 v[2:3], v[2:3], off
	v_add_co_u32 v6, vcc_lo, v4, s4
	s_wait_alu 0xfffd
	v_add_co_ci_u32_e32 v7, vcc_lo, s5, v5, vcc_lo
	s_delay_alu instid0(VALU_DEP_2) | instskip(SKIP_1) | instid1(VALU_DEP_2)
	v_add_co_u32 v8, vcc_lo, v6, s2
	s_wait_alu 0xfffd
	v_add_co_ci_u32_e32 v9, vcc_lo, s3, v7, vcc_lo
	s_clause 0x1
	global_load_b64 v[4:5], v[4:5], off
	global_load_b64 v[6:7], v[6:7], off
	v_add_co_u32 v10, vcc_lo, v8, s4
	s_wait_alu 0xfffd
	v_add_co_ci_u32_e32 v11, vcc_lo, s5, v9, vcc_lo
	global_load_b64 v[8:9], v[8:9], off
	v_add_co_u32 v12, vcc_lo, v10, s2
	s_wait_alu 0xfffd
	v_add_co_ci_u32_e32 v13, vcc_lo, s3, v11, vcc_lo
	;; [unrolled: 4-line block ×5, first 2 shown]
	global_load_b64 v[93:94], v108, s[8:9] offset:5600
	global_load_b64 v[16:17], v[16:17], off
	global_load_b64 v[97:98], v108, s[8:9] offset:12600
	global_load_b64 v[18:19], v[18:19], off
	v_add_nc_u32_e32 v36, 0x1400, v108
	s_load_b128 s[4:7], s[6:7], 0x0
	v_cmp_gt_u16_e32 vcc_lo, 0x4b, v32
	s_wait_loadcnt 0xb
	v_mul_f32_e32 v22, v1, v100
	s_wait_loadcnt 0xa
	v_mul_f32_e32 v20, v3, v96
	v_mul_f32_e32 v21, v2, v96
	v_add_nc_u32_e32 v35, 0xa00, v108
	v_mul_f32_e32 v23, v0, v100
	v_fmac_f32_e32 v22, v0, v99
	v_fmac_f32_e32 v20, v2, v95
	v_lshlrev_b32_e32 v117, 4, v107
	v_add_co_u32 v118, null, 0xaf, v107
	s_wait_loadcnt 0x9
	v_mul_f32_e32 v2, v5, v92
	s_wait_loadcnt 0x8
	v_mul_f32_e32 v0, v7, v82
	v_fma_f32 v21, v3, v95, -v21
	v_add_nc_u32_e32 v33, 0x2a00, v108
	v_and_b32_e32 v30, 1, v107
	v_fmac_f32_e32 v2, v4, v91
	v_fmac_f32_e32 v0, v6, v81
	ds_store_b64 v108, v[20:21] offset:7000
	v_mul_f32_e32 v20, v6, v82
	v_fma_f32 v23, v1, v99, -v23
	s_wait_loadcnt 0x7
	v_dual_mul_f32 v1, v4, v92 :: v_dual_mul_f32 v4, v9, v90
	s_wait_loadcnt 0x6
	v_mul_f32_e32 v6, v11, v86
	v_lshlrev_b32_e32 v109, 4, v118
	v_lshlrev_b32_e32 v31, 5, v30
	v_fma_f32 v3, v5, v91, -v1
	v_mul_f32_e32 v5, v8, v90
	v_fmac_f32_e32 v4, v8, v89
	s_wait_loadcnt 0x5
	v_mul_f32_e32 v8, v13, v88
	v_fma_f32 v1, v7, v81, -v20
	v_mul_f32_e32 v7, v10, v86
	v_fma_f32 v5, v9, v89, -v5
	v_dual_mul_f32 v9, v12, v88 :: v_dual_fmac_f32 v6, v10, v85
	s_wait_loadcnt 0x4
	v_dual_mul_f32 v10, v15, v84 :: v_dual_and_b32 v37, 1, v118
	v_fmac_f32_e32 v8, v12, v87
	s_delay_alu instid0(VALU_DEP_3)
	v_fma_f32 v9, v13, v87, -v9
	s_wait_loadcnt 0x2
	v_mul_f32_e32 v12, v17, v94
	v_mul_f32_e32 v13, v16, v94
	v_fma_f32 v7, v11, v85, -v7
	v_mul_f32_e32 v11, v14, v84
	v_fmac_f32_e32 v10, v14, v83
	s_wait_loadcnt 0x0
	v_mul_f32_e32 v14, v19, v98
	v_mul_f32_e32 v20, v18, v98
	v_fmac_f32_e32 v12, v16, v93
	v_fma_f32 v13, v17, v93, -v13
	v_fma_f32 v11, v15, v83, -v11
	v_fmac_f32_e32 v14, v18, v97
	v_fma_f32 v15, v19, v97, -v20
	ds_store_2addr_b64 v108, v[22:23], v[2:3] offset1:175
	ds_store_2addr_b64 v34, v[0:1], v[6:7] offset0:26 offset1:201
	ds_store_2addr_b64 v35, v[4:5], v[8:9] offset0:30 offset1:205
	ds_store_b64 v108, v[12:13] offset:5600
	ds_store_2addr_b64 v33, v[10:11], v[14:15] offset0:56 offset1:231
	global_wb scope:SCOPE_SE
	s_wait_dscnt 0x0
	s_wait_kmcnt 0x0
	s_barrier_signal -1
	s_barrier_wait -1
	global_inv scope:SCOPE_SE
	ds_load_2addr_b64 v[0:3], v108 offset1:175
	ds_load_2addr_b64 v[4:7], v36 offset0:60 offset1:235
	ds_load_2addr_b64 v[8:11], v34 offset0:26 offset1:201
	;; [unrolled: 1-line block ×4, first 2 shown]
	v_and_b32_e32 v20, 0xffff, v24
	global_wb scope:SCOPE_SE
	s_wait_dscnt 0x0
	s_barrier_signal -1
	s_barrier_wait -1
	global_inv scope:SCOPE_SE
	v_lshlrev_b32_e32 v110, 3, v20
	v_dual_sub_f32 v20, v0, v6 :: v_dual_sub_f32 v21, v1, v7
	v_dual_sub_f32 v8, v2, v8 :: v_dual_sub_f32 v9, v3, v9
	;; [unrolled: 1-line block ×5, first 2 shown]
	v_fma_f32 v18, v0, 2.0, -v20
	v_fma_f32 v19, v1, 2.0, -v21
	;; [unrolled: 1-line block ×4, first 2 shown]
	v_lshlrev_b32_e32 v0, 5, v37
	v_fma_f32 v22, v12, 2.0, -v24
	v_fma_f32 v23, v13, 2.0, -v25
	;; [unrolled: 1-line block ×6, first 2 shown]
	ds_store_b128 v110, v[18:21]
	ds_store_b128 v109, v[6:9]
	ds_store_b128 v117, v[22:25] offset:5600
	ds_store_b128 v117, v[14:17] offset:8400
	;; [unrolled: 1-line block ×3, first 2 shown]
	global_wb scope:SCOPE_SE
	s_wait_dscnt 0x0
	s_barrier_signal -1
	s_barrier_wait -1
	global_inv scope:SCOPE_SE
	s_clause 0x3
	global_load_b128 v[12:15], v31, s[10:11]
	global_load_b128 v[8:11], v31, s[10:11] offset:16
	global_load_b128 v[4:7], v0, s[10:11]
	global_load_b128 v[0:3], v0, s[10:11] offset:16
	v_lshrrev_b32_e32 v18, 1, v118
	v_and_b32_e32 v17, 0xff, v32
	ds_load_2addr_b64 v[20:23], v36 offset0:60 offset1:235
	v_mul_u32_u24_e32 v24, 10, v18
	v_mul_lo_u16 v17, 0xcd, v17
	s_delay_alu instid0(VALU_DEP_2) | instskip(SKIP_4) | instid1(VALU_DEP_2)
	v_or_b32_e32 v40, v24, v37
	ds_load_2addr_b64 v[24:27], v34 offset0:26 offset1:201
	v_and_b32_e32 v16, 0xffff, v118
	v_lshrrev_b16 v47, 11, v17
	v_lshlrev_b32_e32 v111, 3, v40
	v_mul_lo_u16 v19, v47, 10
	s_delay_alu instid0(VALU_DEP_1) | instskip(NEXT) | instid1(VALU_DEP_1)
	v_sub_nc_u16 v28, v32, v19
	v_and_b32_e32 v37, 0xff, v28
	s_wait_loadcnt_dscnt 0x200
	v_mul_f32_e32 v53, v24, v9
	v_mul_f32_e32 v51, v20, v15
	s_wait_loadcnt 0x0
	v_mul_f32_e32 v61, v26, v1
	v_mul_u32_u24_e32 v16, 0xcccd, v16
	v_dual_mul_f32 v59, v22, v7 :: v_dual_mul_f32 v52, v25, v9
	v_dual_fmac_f32 v51, v21, v14 :: v_dual_lshlrev_b32 v44, 5, v37
	s_delay_alu instid0(VALU_DEP_3)
	v_lshrrev_b32_e32 v46, 19, v16
	v_lshrrev_b32_e32 v16, 1, v107
	v_fmac_f32_e32 v61, v27, v0
	v_fmac_f32_e32 v53, v25, v8
	;; [unrolled: 1-line block ×3, first 2 shown]
	v_mul_lo_u16 v17, v46, 10
	v_mul_u32_u24_e32 v16, 10, v16
	v_fma_f32 v24, v24, v8, -v52
	s_delay_alu instid0(VALU_DEP_3) | instskip(NEXT) | instid1(VALU_DEP_3)
	v_sub_nc_u16 v48, v118, v17
	v_or_b32_e32 v38, v16, v30
	ds_load_2addr_b64 v[16:19], v35 offset0:30 offset1:205
	ds_load_2addr_b64 v[28:31], v33 offset0:56 offset1:231
	v_lshlrev_b16 v39, 5, v48
	s_delay_alu instid0(VALU_DEP_1) | instskip(NEXT) | instid1(VALU_DEP_1)
	v_and_b32_e32 v39, 0xffff, v39
	v_add_co_u32 v42, s2, s10, v39
	s_wait_alu 0xf1ff
	v_add_co_ci_u32_e64 v43, null, s11, 0, s2
	s_wait_dscnt 0x1
	v_dual_mul_f32 v49, v16, v13 :: v_dual_lshlrev_b32 v112, 3, v38
	ds_load_2addr_b64 v[38:41], v108 offset1:175
	v_mul_f32_e32 v45, v17, v13
	s_wait_dscnt 0x1
	v_dual_mul_f32 v54, v29, v11 :: v_dual_mul_f32 v57, v18, v5
	v_mul_f32_e32 v50, v21, v15
	v_dual_mul_f32 v55, v28, v11 :: v_dual_mul_f32 v56, v19, v5
	v_mul_f32_e32 v58, v23, v7
	v_fma_f32 v16, v16, v12, -v45
	v_fmac_f32_e32 v57, v19, v4
	s_delay_alu instid0(VALU_DEP_4)
	v_fmac_f32_e32 v55, v29, v10
	v_fma_f32 v45, v20, v14, -v50
	v_fma_f32 v50, v28, v10, -v54
	v_mul_f32_e32 v60, v27, v1
	v_mul_f32_e32 v62, v31, v3
	;; [unrolled: 1-line block ×3, first 2 shown]
	v_sub_f32_e32 v19, v16, v45
	v_fmac_f32_e32 v49, v17, v12
	v_fma_f32 v17, v18, v4, -v56
	v_fma_f32 v22, v22, v6, -v58
	v_add_f32_e32 v21, v16, v50
	v_fma_f32 v23, v26, v0, -v60
	v_fma_f32 v52, v30, v2, -v62
	v_dual_fmac_f32 v63, v31, v2 :: v_dual_add_f32 v18, v45, v24
	s_wait_dscnt 0x0
	v_dual_sub_f32 v20, v50, v24 :: v_dual_add_f32 v27, v39, v49
	v_dual_sub_f32 v25, v45, v16 :: v_dual_sub_f32 v26, v24, v50
	v_dual_add_f32 v28, v51, v53 :: v_dual_sub_f32 v29, v49, v51
	v_dual_sub_f32 v30, v55, v53 :: v_dual_add_f32 v31, v49, v55
	v_dual_add_f32 v58, v40, v17 :: v_dual_sub_f32 v69, v57, v59
	v_dual_sub_f32 v62, v17, v22 :: v_dual_add_f32 v75, v38, v16
	v_dual_add_f32 v60, v22, v23 :: v_dual_sub_f32 v77, v45, v24
	v_dual_add_f32 v68, v59, v61 :: v_dual_sub_f32 v73, v61, v63
	;; [unrolled: 1-line block ×3, first 2 shown]
	v_dual_sub_f32 v54, v51, v49 :: v_dual_add_f32 v65, v17, v52
	v_dual_sub_f32 v66, v22, v17 :: v_dual_add_f32 v71, v57, v63
	v_dual_sub_f32 v56, v53, v55 :: v_dual_sub_f32 v67, v23, v52
	v_dual_sub_f32 v64, v52, v23 :: v_dual_add_f32 v103, v19, v20
	v_dual_sub_f32 v70, v63, v61 :: v_dual_sub_f32 v49, v49, v55
	v_sub_f32_e32 v102, v17, v52
	v_dual_add_f32 v104, v25, v26 :: v_dual_add_f32 v25, v75, v45
	v_fma_f32 v16, -0.5, v18, v38
	v_fma_f32 v17, -0.5, v28, v39
	;; [unrolled: 1-line block ×3, first 2 shown]
	v_add_f32_e32 v28, v58, v22
	v_sub_f32_e32 v76, v51, v53
	v_fma_f32 v18, -0.5, v21, v38
	v_add_f32_e32 v26, v27, v51
	v_dual_sub_f32 v72, v59, v57 :: v_dual_sub_f32 v79, v22, v23
	v_sub_f32_e32 v57, v57, v63
	v_fma_f32 v20, -0.5, v60, v40
	v_fma_f32 v21, -0.5, v68, v41
	v_dual_add_f32 v27, v74, v59 :: v_dual_sub_f32 v78, v59, v61
	v_add_f32_e32 v105, v29, v30
	v_fma_f32 v40, -0.5, v65, v40
	v_fmac_f32_e32 v41, -0.5, v71
	v_add_f32_e32 v60, v66, v67
	v_add_f32_e32 v30, v25, v24
	v_fmamk_f32 v22, v49, 0x3f737871, v16
	v_fmac_f32_e32 v16, 0xbf737871, v49
	v_dual_fmamk_f32 v25, v77, 0x3f737871, v19 :: v_dual_add_f32 v38, v28, v23
	v_fmac_f32_e32 v19, 0xbf737871, v77
	v_dual_fmamk_f32 v23, v101, 0xbf737871, v17 :: v_dual_add_f32 v54, v54, v56
	v_dual_add_f32 v45, v72, v73 :: v_dual_add_f32 v56, v62, v64
	v_dual_add_f32 v39, v27, v61 :: v_dual_fmamk_f32 v24, v76, 0xbf737871, v18
	v_dual_fmac_f32 v18, 0x3f737871, v76 :: v_dual_fmamk_f32 v29, v79, 0x3f737871, v41
	v_dual_fmac_f32 v17, 0x3f737871, v101 :: v_dual_add_f32 v62, v69, v70
	v_dual_add_f32 v31, v26, v53 :: v_dual_fmamk_f32 v26, v57, 0x3f737871, v20
	v_dual_fmamk_f32 v27, v102, 0xbf737871, v21 :: v_dual_fmac_f32 v20, 0xbf737871, v57
	v_dual_add_f32 v39, v39, v63 :: v_dual_fmamk_f32 v28, v78, 0xbf737871, v40
	v_fmac_f32_e32 v40, 0x3f737871, v78
	v_fmac_f32_e32 v21, 0x3f737871, v102
	;; [unrolled: 1-line block ×3, first 2 shown]
	v_dual_fmac_f32 v22, 0x3f167918, v76 :: v_dual_fmac_f32 v17, 0x3f167918, v77
	v_dual_fmac_f32 v16, 0xbf167918, v76 :: v_dual_fmac_f32 v23, 0xbf167918, v77
	s_delay_alu instid0(VALU_DEP_4)
	v_dual_fmac_f32 v24, 0x3f167918, v49 :: v_dual_fmac_f32 v21, 0x3f167918, v79
	v_dual_fmac_f32 v18, 0xbf167918, v49 :: v_dual_fmac_f32 v27, 0xbf167918, v79
	v_dual_add_f32 v30, v30, v50 :: v_dual_fmac_f32 v25, 0xbf167918, v101
	v_add_f32_e32 v31, v31, v55
	v_dual_fmac_f32 v19, 0x3f167918, v101 :: v_dual_fmac_f32 v26, 0x3f167918, v78
	v_fmac_f32_e32 v20, 0xbf167918, v78
	v_dual_fmac_f32 v28, 0x3f167918, v57 :: v_dual_fmac_f32 v41, 0x3f167918, v102
	v_dual_fmac_f32 v40, 0xbf167918, v57 :: v_dual_fmac_f32 v29, 0xbf167918, v102
	v_dual_add_f32 v38, v38, v52 :: v_dual_fmac_f32 v23, 0x3e9e377a, v105
	v_dual_fmac_f32 v22, 0x3e9e377a, v103 :: v_dual_fmac_f32 v17, 0x3e9e377a, v105
	v_dual_fmac_f32 v16, 0x3e9e377a, v103 :: v_dual_fmac_f32 v25, 0x3e9e377a, v54
	;; [unrolled: 1-line block ×7, first 2 shown]
	v_fmac_f32_e32 v40, 0x3e9e377a, v60
	global_wb scope:SCOPE_SE
	s_barrier_signal -1
	s_barrier_wait -1
	global_inv scope:SCOPE_SE
	ds_store_2addr_b64 v112, v[30:31], v[22:23] offset1:2
	ds_store_2addr_b64 v112, v[24:25], v[18:19] offset0:4 offset1:6
	ds_store_b64 v112, v[16:17] offset:64
	ds_store_2addr_b64 v111, v[38:39], v[26:27] offset1:2
	ds_store_2addr_b64 v111, v[28:29], v[40:41] offset0:4 offset1:6
	ds_store_b64 v111, v[20:21] offset:64
	global_wb scope:SCOPE_SE
	s_wait_dscnt 0x0
	s_barrier_signal -1
	s_barrier_wait -1
	global_inv scope:SCOPE_SE
	s_clause 0x3
	global_load_b128 v[24:27], v44, s[10:11] offset:64
	global_load_b128 v[20:23], v[42:43], off offset:64
	global_load_b128 v[28:31], v44, s[10:11] offset:80
	global_load_b128 v[16:19], v[42:43], off offset:80
	ds_load_2addr_b64 v[38:41], v35 offset0:30 offset1:205
	ds_load_2addr_b64 v[42:45], v36 offset0:60 offset1:235
	v_and_b32_e32 v35, 0xffff, v47
	v_mad_u16 v36, v46, 50, v48
	ds_load_2addr_b64 v[46:49], v34 offset0:26 offset1:201
	ds_load_2addr_b64 v[56:59], v108 offset1:175
	v_add_nc_u32_e32 v52, 0xf80, v108
	v_mul_u32_u24_e32 v50, 50, v35
	v_and_b32_e32 v51, 0xffff, v36
	ds_load_2addr_b64 v[33:36], v33 offset0:56 offset1:231
	v_add_nc_u32_e32 v53, 0x1f40, v108
	global_wb scope:SCOPE_SE
	s_wait_loadcnt_dscnt 0x0
	v_add_lshl_u32 v116, v50, v37, 3
	s_barrier_signal -1
	s_barrier_wait -1
	global_inv scope:SCOPE_SE
	v_mul_f32_e32 v37, v39, v25
	v_mul_f32_e32 v60, v40, v21
	;; [unrolled: 1-line block ×4, first 2 shown]
	v_lshlrev_b32_e32 v115, 3, v51
	v_mul_f32_e32 v51, v43, v27
	v_mul_f32_e32 v61, v47, v29
	v_dual_mul_f32 v65, v34, v31 :: v_dual_mul_f32 v68, v48, v17
	v_mul_f32_e32 v55, v41, v21
	v_dual_mul_f32 v62, v46, v29 :: v_dual_mul_f32 v63, v45, v23
	v_dual_mul_f32 v69, v36, v19 :: v_dual_fmac_f32 v50, v39, v24
	v_fma_f32 v37, v38, v24, -v37
	v_fma_f32 v39, v42, v26, -v51
	v_fmac_f32_e32 v60, v41, v20
	v_fma_f32 v41, v46, v28, -v61
	v_fmac_f32_e32 v54, v43, v26
	v_fma_f32 v43, v33, v30, -v65
	v_dual_mul_f32 v64, v44, v23 :: v_dual_mul_f32 v67, v49, v17
	v_dual_mul_f32 v66, v33, v31 :: v_dual_add_f32 v33, v56, v37
	s_delay_alu instid0(VALU_DEP_3)
	v_dual_fmac_f32 v62, v47, v28 :: v_dual_sub_f32 v51, v37, v43
	v_fmac_f32_e32 v68, v49, v16
	v_sub_f32_e32 v49, v41, v43
	v_mul_f32_e32 v70, v35, v19
	v_fma_f32 v38, v40, v20, -v55
	v_sub_f32_e32 v55, v54, v62
	v_dual_fmac_f32 v64, v45, v22 :: v_dual_sub_f32 v47, v39, v37
	v_fma_f32 v45, v35, v18, -v69
	v_dual_add_f32 v35, v39, v41 :: v_dual_fmac_f32 v66, v34, v30
	s_delay_alu instid0(VALU_DEP_3)
	v_sub_f32_e32 v103, v60, v64
	v_fma_f32 v40, v44, v22, -v63
	v_fma_f32 v42, v48, v16, -v67
	v_dual_fmac_f32 v70, v36, v18 :: v_dual_add_f32 v79, v38, v45
	v_dual_add_f32 v34, v57, v50 :: v_dual_sub_f32 v101, v38, v45
	v_dual_sub_f32 v36, v37, v39 :: v_dual_sub_f32 v61, v50, v54
	v_dual_add_f32 v46, v37, v43 :: v_dual_sub_f32 v67, v50, v66
	v_add_f32_e32 v37, v54, v62
	v_dual_sub_f32 v69, v62, v66 :: v_dual_add_f32 v72, v59, v60
	v_dual_add_f32 v71, v58, v38 :: v_dual_sub_f32 v102, v64, v68
	v_dual_sub_f32 v44, v43, v41 :: v_dual_sub_f32 v63, v54, v50
	v_add_f32_e32 v50, v50, v66
	v_dual_sub_f32 v48, v39, v41 :: v_dual_sub_f32 v65, v66, v62
	v_dual_add_f32 v73, v40, v42 :: v_dual_sub_f32 v74, v38, v40
	v_dual_sub_f32 v75, v40, v38 :: v_dual_sub_f32 v78, v42, v45
	v_dual_sub_f32 v77, v45, v42 :: v_dual_add_f32 v38, v64, v68
	v_sub_f32_e32 v104, v64, v60
	v_dual_sub_f32 v105, v60, v70 :: v_dual_sub_f32 v106, v70, v68
	v_add_f32_e32 v60, v60, v70
	v_dual_sub_f32 v76, v40, v42 :: v_dual_add_f32 v47, v47, v49
	v_dual_sub_f32 v113, v68, v70 :: v_dual_add_f32 v40, v71, v40
	v_dual_add_f32 v39, v33, v39 :: v_dual_add_f32 v54, v34, v54
	v_add_f32_e32 v71, v72, v64
	v_fma_f32 v33, -0.5, v35, v56
	v_fma_f32 v34, -0.5, v37, v57
	v_add_f32_e32 v72, v36, v44
	v_fma_f32 v35, -0.5, v46, v56
	v_fma_f32 v36, -0.5, v50, v57
	;; [unrolled: 3-line block ×3, first 2 shown]
	v_add_f32_e32 v61, v74, v77
	v_dual_add_f32 v50, v63, v69 :: v_dual_fmac_f32 v59, -0.5, v60
	v_fma_f32 v58, -0.5, v79, v58
	v_add_f32_e32 v44, v39, v41
	v_dual_add_f32 v46, v54, v62 :: v_dual_fmamk_f32 v37, v67, 0x3f737871, v33
	v_dual_add_f32 v62, v71, v68 :: v_dual_fmac_f32 v33, 0xbf737871, v67
	v_fmamk_f32 v38, v51, 0xbf737871, v34
	v_dual_add_f32 v54, v40, v42 :: v_dual_fmamk_f32 v39, v55, 0xbf737871, v35
	v_dual_fmac_f32 v35, 0x3f737871, v55 :: v_dual_fmamk_f32 v40, v48, 0x3f737871, v36
	v_dual_fmac_f32 v36, 0xbf737871, v48 :: v_dual_add_f32 v43, v44, v43
	v_fmac_f32_e32 v34, 0x3f737871, v51
	v_dual_fmamk_f32 v41, v105, 0x3f737871, v64 :: v_dual_add_f32 v44, v46, v66
	v_fmamk_f32 v42, v101, 0xbf737871, v65
	v_fmac_f32_e32 v64, 0xbf737871, v105
	v_fmamk_f32 v56, v102, 0xbf737871, v58
	v_dual_fmac_f32 v58, 0x3f737871, v102 :: v_dual_fmamk_f32 v57, v76, 0x3f737871, v59
	v_fmac_f32_e32 v59, 0xbf737871, v76
	v_dual_fmac_f32 v65, 0x3f737871, v101 :: v_dual_add_f32 v46, v62, v70
	v_fmac_f32_e32 v37, 0x3f167918, v55
	v_dual_fmac_f32 v33, 0xbf167918, v55 :: v_dual_fmac_f32 v38, 0xbf167918, v48
	v_add_f32_e32 v45, v54, v45
	v_dual_fmac_f32 v39, 0x3f167918, v67 :: v_dual_fmac_f32 v34, 0x3f167918, v48
	v_dual_fmac_f32 v35, 0xbf167918, v67 :: v_dual_fmac_f32 v64, 0xbf167918, v102
	;; [unrolled: 1-line block ×4, first 2 shown]
	v_dual_add_f32 v69, v103, v106 :: v_dual_add_f32 v60, v104, v113
	v_dual_fmac_f32 v42, 0xbf167918, v76 :: v_dual_add_f32 v63, v75, v78
	v_dual_fmac_f32 v56, 0x3f167918, v105 :: v_dual_fmac_f32 v65, 0x3f167918, v76
	v_fmac_f32_e32 v58, 0xbf167918, v105
	v_fmac_f32_e32 v59, 0x3f167918, v101
	v_dual_fmac_f32 v37, 0x3e9e377a, v72 :: v_dual_fmac_f32 v38, 0x3e9e377a, v49
	v_dual_fmac_f32 v39, 0x3e9e377a, v47 :: v_dual_fmac_f32 v40, 0x3e9e377a, v50
	;; [unrolled: 1-line block ×8, first 2 shown]
	ds_store_2addr_b64 v116, v[43:44], v[37:38] offset1:10
	ds_store_2addr_b64 v116, v[39:40], v[35:36] offset0:20 offset1:30
	ds_store_b64 v116, v[33:34] offset:320
	ds_store_2addr_b64 v115, v[45:46], v[41:42] offset1:10
	ds_store_2addr_b64 v115, v[56:57], v[58:59] offset0:20 offset1:30
	ds_store_b64 v115, v[64:65] offset:320
	global_wb scope:SCOPE_SE
	s_wait_dscnt 0x0
	s_barrier_signal -1
	s_barrier_wait -1
	global_inv scope:SCOPE_SE
	ds_load_2addr_b64 v[60:63], v108 offset1:250
	ds_load_2addr_b64 v[76:79], v52 offset0:4 offset1:254
	ds_load_2addr_b64 v[72:75], v53 offset1:250
	ds_load_b64 v[101:102], v108 offset:12000
	v_add_co_u32 v103, s2, s8, v108
	s_wait_alu 0xf1ff
	v_add_co_ci_u32_e64 v104, null, s9, 0, s2
                                        ; implicit-def: $vgpr70
                                        ; implicit-def: $vgpr105
	s_and_saveexec_b32 s2, vcc_lo
	s_cbranch_execz .LBB0_3
; %bb.2:
	v_add_nc_u32_e32 v32, 0x560, v108
	v_add_nc_u32_e32 v33, 0x1500, v108
	v_add_nc_u32_e32 v34, 0x24a0, v108
	ds_load_2addr_b64 v[56:59], v32 offset0:3 offset1:253
	ds_load_2addr_b64 v[64:67], v33 offset0:3 offset1:253
	;; [unrolled: 1-line block ×3, first 2 shown]
	ds_load_b64 v[105:106], v108 offset:13400
.LBB0_3:
	s_wait_alu 0xfffe
	s_or_b32 exec_lo, exec_lo, s2
	v_and_b32_e32 v32, 0xff, v107
	s_delay_alu instid0(VALU_DEP_1) | instskip(NEXT) | instid1(VALU_DEP_1)
	v_mul_lo_u16 v32, v32, 41
	v_lshrrev_b16 v119, 11, v32
	v_lshrrev_b16 v32, 1, v118
	s_delay_alu instid0(VALU_DEP_2) | instskip(NEXT) | instid1(VALU_DEP_2)
	v_mul_lo_u16 v33, v119, 50
	v_and_b32_e32 v32, 0xffff, v32
	s_delay_alu instid0(VALU_DEP_2) | instskip(NEXT) | instid1(VALU_DEP_2)
	v_sub_nc_u16 v33, v107, v33
	v_mul_u32_u24_e32 v32, 0x147b, v32
	s_delay_alu instid0(VALU_DEP_2) | instskip(NEXT) | instid1(VALU_DEP_2)
	v_and_b32_e32 v122, 0xff, v33
	v_lshrrev_b32_e32 v113, 17, v32
	s_delay_alu instid0(VALU_DEP_2) | instskip(NEXT) | instid1(VALU_DEP_2)
	v_mad_co_u64_u32 v[32:33], null, v122, 48, s[10:11]
	v_mul_lo_u16 v34, v113, 50
	s_delay_alu instid0(VALU_DEP_1)
	v_sub_nc_u16 v114, v118, v34
	s_clause 0x2
	global_load_b128 v[52:55], v[32:33], off offset:384
	global_load_b128 v[48:51], v[32:33], off offset:400
	;; [unrolled: 1-line block ×3, first 2 shown]
	v_and_b32_e32 v119, 0xffff, v119
	v_mul_lo_u16 v34, v114, 48
	v_add_nc_u32_e32 v121, 0x15e0, v117
	v_add_nc_u32_e32 v120, 0x20d0, v117
	s_delay_alu instid0(VALU_DEP_4) | instskip(NEXT) | instid1(VALU_DEP_4)
	v_mul_u32_u24_e32 v123, 0x15e, v119
	v_and_b32_e32 v32, 0xffff, v34
	s_wait_loadcnt_dscnt 0x202
	v_dual_mul_f32 v124, v77, v55 :: v_dual_add_nc_u32 v119, 0x2bc0, v117
	s_wait_loadcnt_dscnt 0x101
	v_dual_mul_f32 v128, v73, v51 :: v_dual_mul_f32 v127, v78, v49
	v_add_co_u32 v40, s2, s10, v32
	s_wait_alu 0xf1ff
	v_add_co_ci_u32_e64 v41, null, s11, 0, s2
	s_clause 0x2
	global_load_b128 v[36:39], v[40:41], off offset:384
	global_load_b128 v[32:35], v[40:41], off offset:400
	;; [unrolled: 1-line block ×3, first 2 shown]
	v_dual_mul_f32 v125, v76, v55 :: v_dual_mul_f32 v126, v79, v49
	v_mul_f32_e32 v129, v72, v51
	v_add_lshl_u32 v117, v123, v122, 3
	s_delay_alu instid0(VALU_DEP_3)
	v_dual_mul_f32 v122, v63, v53 :: v_dual_fmac_f32 v125, v77, v54
	v_mul_f32_e32 v123, v62, v53
	s_wait_loadcnt 0x3
	v_dual_mul_f32 v130, v75, v45 :: v_dual_fmac_f32 v129, v73, v50
	v_mul_f32_e32 v131, v74, v45
	s_wait_dscnt 0x0
	v_dual_mul_f32 v132, v102, v47 :: v_dual_fmac_f32 v123, v63, v52
	v_mul_f32_e32 v133, v101, v47
	v_fma_f32 v62, v62, v52, -v122
	v_fma_f32 v63, v76, v54, -v124
	;; [unrolled: 1-line block ×3, first 2 shown]
	v_fmac_f32_e32 v127, v79, v48
	v_fma_f32 v72, v72, v50, -v128
	v_fma_f32 v73, v74, v44, -v130
	;; [unrolled: 1-line block ×3, first 2 shown]
	v_fmac_f32_e32 v133, v102, v46
	global_wb scope:SCOPE_SE
	s_wait_loadcnt 0x0
	s_barrier_signal -1
	s_barrier_wait -1
	global_inv scope:SCOPE_SE
	v_add_f32_e32 v134, v62, v74
	v_sub_f32_e32 v62, v62, v74
	v_dual_mul_f32 v77, v58, v37 :: v_dual_mul_f32 v78, v65, v39
	v_dual_mul_f32 v132, v105, v43 :: v_dual_fmac_f32 v131, v75, v44
	v_dual_mul_f32 v122, v69, v35 :: v_dual_mul_f32 v75, v59, v37
	v_mul_f32_e32 v130, v106, v43
	v_dual_mul_f32 v79, v64, v39 :: v_dual_mul_f32 v126, v71, v41
	v_mul_f32_e32 v101, v67, v33
	v_mul_f32_e32 v102, v66, v33
	;; [unrolled: 1-line block ×3, first 2 shown]
	v_dual_mul_f32 v124, v68, v35 :: v_dual_add_f32 v135, v123, v133
	v_sub_f32_e32 v74, v123, v133
	v_add_f32_e32 v123, v63, v73
	v_add_f32_e32 v133, v125, v131
	v_sub_f32_e32 v63, v63, v73
	v_sub_f32_e32 v73, v125, v131
	v_dual_add_f32 v125, v76, v72 :: v_dual_fmac_f32 v124, v69, v34
	v_dual_add_f32 v131, v127, v129 :: v_dual_fmac_f32 v132, v106, v42
	v_sub_f32_e32 v72, v72, v76
	v_sub_f32_e32 v76, v129, v127
	v_fma_f32 v58, v58, v36, -v75
	v_fmac_f32_e32 v77, v59, v36
	v_fma_f32 v59, v64, v38, -v78
	v_dual_add_f32 v106, v72, v63 :: v_dual_fmac_f32 v79, v65, v38
	v_fmac_f32_e32 v102, v67, v32
	v_fma_f32 v64, v66, v32, -v101
	v_fma_f32 v66, v70, v40, -v126
	v_dual_fmac_f32 v128, v71, v40 :: v_dual_add_f32 v69, v133, v135
	v_fma_f32 v67, v105, v42, -v130
	v_fma_f32 v65, v68, v34, -v122
	v_dual_add_f32 v68, v123, v134 :: v_dual_sub_f32 v71, v133, v135
	v_dual_sub_f32 v70, v123, v134 :: v_dual_sub_f32 v75, v134, v125
	v_sub_f32_e32 v78, v135, v131
	v_dual_sub_f32 v101, v125, v123 :: v_dual_add_f32 v122, v76, v73
	v_sub_f32_e32 v105, v131, v133
	v_sub_f32_e32 v123, v72, v63
	v_dual_sub_f32 v126, v76, v73 :: v_dual_sub_f32 v63, v63, v62
	v_dual_add_f32 v127, v58, v67 :: v_dual_add_f32 v130, v79, v128
	v_dual_add_f32 v129, v77, v132 :: v_dual_sub_f32 v58, v58, v67
	v_dual_add_f32 v67, v59, v66 :: v_dual_sub_f32 v72, v62, v72
	v_dual_sub_f32 v76, v74, v76 :: v_dual_sub_f32 v73, v73, v74
	v_dual_sub_f32 v77, v77, v132 :: v_dual_add_f32 v62, v106, v62
	v_sub_f32_e32 v59, v59, v66
	v_dual_sub_f32 v66, v79, v128 :: v_dual_add_f32 v79, v64, v65
	v_add_f32_e32 v128, v102, v124
	v_dual_sub_f32 v64, v65, v64 :: v_dual_sub_f32 v65, v124, v102
	v_dual_add_f32 v68, v125, v68 :: v_dual_add_f32 v69, v131, v69
	v_dual_add_f32 v74, v122, v74 :: v_dual_mul_f32 v75, 0x3f4a47b2, v75
	v_mul_f32_e32 v78, 0x3f4a47b2, v78
	v_mul_f32_e32 v102, 0x3d64c772, v101
	;; [unrolled: 1-line block ×3, first 2 shown]
	v_dual_mul_f32 v122, 0xbf08b237, v123 :: v_dual_mul_f32 v123, 0xbf08b237, v126
	v_dual_mul_f32 v124, 0x3f5ff5aa, v63 :: v_dual_mul_f32 v125, 0x3f5ff5aa, v73
	v_dual_add_f32 v126, v67, v127 :: v_dual_add_f32 v131, v130, v129
	v_dual_sub_f32 v132, v67, v127 :: v_dual_sub_f32 v133, v130, v129
	v_sub_f32_e32 v127, v127, v79
	v_dual_sub_f32 v129, v129, v128 :: v_dual_sub_f32 v134, v79, v67
	v_dual_sub_f32 v130, v128, v130 :: v_dual_add_f32 v67, v61, v69
	v_dual_add_f32 v135, v64, v59 :: v_dual_add_f32 v136, v65, v66
	v_dual_sub_f32 v137, v64, v59 :: v_dual_sub_f32 v138, v65, v66
	v_dual_sub_f32 v64, v58, v64 :: v_dual_sub_f32 v139, v59, v58
	v_sub_f32_e32 v65, v77, v65
	v_dual_sub_f32 v140, v66, v77 :: v_dual_fmamk_f32 v101, v101, 0x3d64c772, v75
	v_dual_add_f32 v66, v60, v68 :: v_dual_fmamk_f32 v105, v105, 0x3d64c772, v78
	v_fma_f32 v102, 0x3f3bfb3b, v70, -v102
	v_fma_f32 v106, 0x3f3bfb3b, v71, -v106
	;; [unrolled: 1-line block ×4, first 2 shown]
	v_fmamk_f32 v75, v72, 0x3eae86e6, v122
	v_fmamk_f32 v78, v76, 0x3eae86e6, v123
	v_fma_f32 v63, 0x3f5ff5aa, v63, -v122
	v_fma_f32 v122, 0x3f5ff5aa, v73, -v123
	;; [unrolled: 1-line block ×3, first 2 shown]
	v_add_f32_e32 v72, v79, v126
	v_add_f32_e32 v79, v135, v58
	v_dual_add_f32 v73, v128, v131 :: v_dual_mul_f32 v60, 0x3d64c772, v134
	v_fma_f32 v76, 0xbeae86e6, v76, -v125
	v_dual_add_f32 v77, v136, v77 :: v_dual_mul_f32 v58, 0x3f4a47b2, v127
	v_dual_mul_f32 v59, 0x3f4a47b2, v129 :: v_dual_add_f32 v56, v56, v72
	v_mul_f32_e32 v61, 0x3d64c772, v130
	v_dual_mul_f32 v124, 0xbf08b237, v137 :: v_dual_mul_f32 v125, 0xbf08b237, v138
	v_dual_mul_f32 v126, 0x3f5ff5aa, v139 :: v_dual_mul_f32 v127, 0x3f5ff5aa, v140
	v_dual_fmamk_f32 v68, v68, 0xbf955555, v66 :: v_dual_fmamk_f32 v69, v69, 0xbf955555, v67
	v_dual_fmac_f32 v78, 0x3ee1c552, v74 :: v_dual_add_f32 v57, v57, v73
	v_fmac_f32_e32 v75, 0x3ee1c552, v62
	v_fmac_f32_e32 v63, 0x3ee1c552, v62
	;; [unrolled: 1-line block ×5, first 2 shown]
	v_fmamk_f32 v62, v134, 0x3d64c772, v58
	v_fmamk_f32 v74, v130, 0x3d64c772, v59
	v_fma_f32 v128, 0x3f3bfb3b, v132, -v60
	v_fma_f32 v129, 0x3f3bfb3b, v133, -v61
	;; [unrolled: 1-line block ×4, first 2 shown]
	v_dual_fmamk_f32 v58, v64, 0x3eae86e6, v124 :: v_dual_fmamk_f32 v59, v65, 0x3eae86e6, v125
	v_fma_f32 v132, 0x3f5ff5aa, v139, -v124
	v_fma_f32 v133, 0x3f5ff5aa, v140, -v125
	;; [unrolled: 1-line block ×4, first 2 shown]
	v_add_f32_e32 v64, v101, v68
	v_add_f32_e32 v65, v105, v69
	v_add_f32_e32 v101, v102, v68
	v_add_f32_e32 v102, v106, v69
	v_dual_add_f32 v124, v70, v68 :: v_dual_add_f32 v125, v71, v69
	v_dual_fmamk_f32 v126, v72, 0xbf955555, v56 :: v_dual_fmamk_f32 v127, v73, 0xbf955555, v57
	v_dual_fmac_f32 v58, 0x3ee1c552, v79 :: v_dual_fmac_f32 v59, 0x3ee1c552, v77
	v_dual_fmac_f32 v132, 0x3ee1c552, v79 :: v_dual_fmac_f32 v133, 0x3ee1c552, v77
	;; [unrolled: 1-line block ×3, first 2 shown]
	v_dual_add_f32 v68, v78, v64 :: v_dual_sub_f32 v69, v65, v75
	v_dual_add_f32 v70, v76, v124 :: v_dual_sub_f32 v71, v125, v123
	v_dual_sub_f32 v72, v101, v122 :: v_dual_add_f32 v105, v122, v101
	v_dual_add_f32 v73, v63, v102 :: v_dual_sub_f32 v106, v102, v63
	v_dual_sub_f32 v122, v124, v76 :: v_dual_add_f32 v123, v123, v125
	v_dual_sub_f32 v124, v64, v78 :: v_dual_add_f32 v125, v75, v65
	v_dual_add_f32 v62, v62, v126 :: v_dual_add_f32 v77, v129, v127
	v_dual_add_f32 v76, v128, v126 :: v_dual_add_f32 v65, v131, v127
	v_add_f32_e32 v64, v74, v127
	v_add_f32_e32 v63, v130, v126
	s_delay_alu instid0(VALU_DEP_4) | instskip(NEXT) | instid1(VALU_DEP_4)
	v_add_f32_e32 v75, v132, v77
	v_sub_f32_e32 v74, v76, v133
	v_dual_add_f32 v76, v133, v76 :: v_dual_sub_f32 v101, v62, v59
	v_sub_f32_e32 v77, v77, v132
	v_dual_sub_f32 v78, v63, v60 :: v_dual_add_f32 v79, v61, v65
	v_add_f32_e32 v102, v58, v64
	ds_store_2addr_b64 v117, v[66:67], v[68:69] offset1:50
	ds_store_2addr_b64 v117, v[70:71], v[72:73] offset0:100 offset1:150
	ds_store_2addr_b64 v117, v[105:106], v[122:123] offset0:200 offset1:250
	ds_store_b64 v117, v[124:125] offset:2400
	s_and_saveexec_b32 s2, vcc_lo
	s_cbranch_execz .LBB0_5
; %bb.4:
	v_mad_u16 v66, 0x15e, v113, v114
	v_dual_add_f32 v60, v60, v63 :: v_dual_sub_f32 v61, v65, v61
	v_sub_f32_e32 v65, v64, v58
	v_add_f32_e32 v64, v59, v62
	s_delay_alu instid0(VALU_DEP_4) | instskip(NEXT) | instid1(VALU_DEP_1)
	v_and_b32_e32 v66, 0xffff, v66
	v_lshlrev_b32_e32 v58, 3, v66
	ds_store_2addr_b64 v58, v[56:57], v[64:65] offset1:50
	ds_store_2addr_b64 v58, v[60:61], v[74:75] offset0:100 offset1:150
	ds_store_2addr_b64 v58, v[76:77], v[78:79] offset0:200 offset1:250
	ds_store_b64 v58, v[101:102] offset:2400
.LBB0_5:
	s_wait_alu 0xfffe
	s_or_b32 exec_lo, exec_lo, s2
	v_lshlrev_b32_e32 v56, 5, v107
	global_wb scope:SCOPE_SE
	s_wait_dscnt 0x0
	s_barrier_signal -1
	s_barrier_wait -1
	global_inv scope:SCOPE_SE
	global_load_b128 v[60:63], v56, s[10:11] offset:2784
	v_lshlrev_b32_e32 v57, 5, v118
	v_add_nc_u32_e32 v106, 0xa00, v108
	v_add_nc_u32_e32 v73, 0x2000, v108
	s_clause 0x2
	global_load_b128 v[68:71], v56, s[10:11] offset:2800
	global_load_b128 v[64:67], v57, s[10:11] offset:2784
	;; [unrolled: 1-line block ×3, first 2 shown]
	v_add_nc_u32_e32 v72, 0x2a00, v108
	ds_load_2addr_b64 v[122:125], v106 offset0:30 offset1:205
	v_add_nc_u32_e32 v105, 0x1400, v108
	s_add_nc_u64 s[2:3], s[8:9], 0x36b0
	s_wait_loadcnt_dscnt 0x300
	v_mul_f32_e32 v142, v122, v61
	ds_load_2addr_b64 v[126:129], v105 offset0:60 offset1:235
	ds_load_2addr_b64 v[130:133], v73 offset0:26 offset1:201
	ds_load_2addr_b64 v[134:137], v72 offset0:56 offset1:231
	ds_load_2addr_b64 v[138:141], v108 offset1:175
	v_mul_f32_e32 v118, v123, v61
	s_wait_loadcnt 0x1
	v_mul_f32_e32 v150, v124, v65
	v_mul_f32_e32 v149, v125, v65
	s_delay_alu instid0(VALU_DEP_3)
	v_fma_f32 v118, v122, v60, -v118
	s_wait_dscnt 0x3
	v_mul_f32_e32 v143, v127, v63
	v_mul_f32_e32 v144, v126, v63
	s_wait_loadcnt_dscnt 0x1
	v_mul_f32_e32 v155, v137, v59
	v_mul_f32_e32 v145, v131, v69
	v_dual_mul_f32 v146, v130, v69 :: v_dual_mul_f32 v151, v129, v67
	v_mul_f32_e32 v147, v135, v71
	v_mul_f32_e32 v148, v134, v71
	v_dual_mul_f32 v152, v128, v67 :: v_dual_mul_f32 v153, v133, v57
	v_fma_f32 v122, v126, v62, -v143
	v_fma_f32 v130, v130, v68, -v145
	v_mul_f32_e32 v154, v132, v57
	v_fmac_f32_e32 v146, v131, v68
	v_fma_f32 v143, v134, v70, -v147
	v_fmac_f32_e32 v144, v127, v62
	v_fmac_f32_e32 v148, v135, v70
	v_dual_fmac_f32 v150, v125, v64 :: v_dual_sub_f32 v131, v122, v118
	v_add_f32_e32 v125, v122, v130
	v_dual_sub_f32 v127, v118, v122 :: v_dual_fmac_f32 v154, v133, v56
	v_dual_sub_f32 v133, v130, v143 :: v_dual_fmac_f32 v152, v129, v66
	v_dual_add_f32 v129, v118, v143 :: v_dual_fmac_f32 v142, v123, v60
	v_sub_f32_e32 v147, v144, v146
	v_mul_f32_e32 v156, v136, v59
	v_fma_f32 v123, v124, v64, -v149
	v_fma_f32 v126, v128, v66, -v151
	;; [unrolled: 1-line block ×4, first 2 shown]
	v_dual_fmac_f32 v156, v137, v58 :: v_dual_sub_f32 v155, v146, v148
	s_wait_dscnt 0x0
	v_dual_add_f32 v124, v138, v118 :: v_dual_add_f32 v157, v140, v123
	s_delay_alu instid0(VALU_DEP_3)
	v_dual_add_f32 v134, v139, v142 :: v_dual_sub_f32 v165, v132, v145
	v_add_f32_e32 v135, v144, v146
	v_add_f32_e32 v153, v142, v148
	v_dual_sub_f32 v137, v142, v148 :: v_dual_sub_f32 v128, v143, v130
	v_sub_f32_e32 v159, v150, v156
	v_dual_sub_f32 v118, v118, v143 :: v_dual_sub_f32 v151, v148, v146
	v_dual_sub_f32 v149, v122, v130 :: v_dual_sub_f32 v162, v145, v132
	;; [unrolled: 1-line block ×3, first 2 shown]
	v_dual_sub_f32 v142, v144, v142 :: v_dual_add_f32 v163, v123, v145
	v_dual_add_f32 v158, v126, v132 :: v_dual_add_f32 v167, v152, v154
	v_dual_sub_f32 v164, v126, v123 :: v_dual_sub_f32 v171, v156, v154
	v_dual_add_f32 v166, v141, v150 :: v_dual_sub_f32 v173, v154, v156
	v_sub_f32_e32 v168, v123, v145
	v_add_f32_e32 v172, v150, v156
	v_add_f32_e32 v174, v124, v122
	v_fma_f32 v122, -0.5, v125, v138
	v_fma_f32 v124, -0.5, v129, v138
	v_add_f32_e32 v129, v134, v144
	v_fma_f32 v123, -0.5, v135, v139
	v_add_f32_e32 v135, v166, v152
	v_sub_f32_e32 v170, v150, v152
	v_dual_sub_f32 v150, v152, v150 :: v_dual_add_f32 v175, v127, v128
	v_fma_f32 v125, -0.5, v153, v139
	v_dual_sub_f32 v160, v152, v154 :: v_dual_sub_f32 v169, v126, v132
	v_dual_add_f32 v144, v136, v151 :: v_dual_add_f32 v151, v161, v162
	v_dual_add_f32 v176, v131, v133 :: v_dual_add_f32 v133, v157, v126
	v_fma_f32 v126, -0.5, v158, v140
	v_fma_f32 v140, -0.5, v163, v140
	;; [unrolled: 1-line block ×3, first 2 shown]
	v_dual_fmac_f32 v141, -0.5, v172 :: v_dual_fmamk_f32 v128, v137, 0x3f737871, v122
	v_dual_add_f32 v138, v129, v146 :: v_dual_fmamk_f32 v129, v118, 0xbf737871, v123
	v_dual_add_f32 v150, v150, v173 :: v_dual_fmamk_f32 v131, v149, 0x3f737871, v125
	v_dual_add_f32 v136, v174, v130 :: v_dual_fmac_f32 v125, 0xbf737871, v149
	v_dual_fmac_f32 v122, 0xbf737871, v137 :: v_dual_add_f32 v139, v133, v132
	v_dual_fmamk_f32 v130, v147, 0xbf737871, v124 :: v_dual_fmamk_f32 v133, v168, 0xbf737871, v127
	v_fmac_f32_e32 v124, 0x3f737871, v147
	v_dual_add_f32 v152, v170, v171 :: v_dual_fmac_f32 v123, 0x3f737871, v118
	v_fmamk_f32 v134, v160, 0xbf737871, v140
	v_fmac_f32_e32 v140, 0x3f737871, v160
	v_dual_add_f32 v146, v135, v154 :: v_dual_fmac_f32 v129, 0xbf167918, v149
	v_fmac_f32_e32 v127, 0x3f737871, v168
	v_fmamk_f32 v135, v169, 0x3f737871, v141
	v_fmac_f32_e32 v141, 0xbf737871, v169
	v_fmamk_f32 v132, v159, 0x3f737871, v126
	v_fmac_f32_e32 v126, 0xbf737871, v159
	v_dual_fmac_f32 v128, 0x3f167918, v147 :: v_dual_fmac_f32 v125, 0x3f167918, v118
	v_dual_add_f32 v142, v142, v155 :: v_dual_add_f32 v153, v164, v165
	v_dual_fmac_f32 v122, 0xbf167918, v147 :: v_dual_fmac_f32 v131, 0xbf167918, v118
	v_dual_fmac_f32 v130, 0x3f167918, v137 :: v_dual_fmac_f32 v141, 0x3f167918, v168
	;; [unrolled: 1-line block ×3, first 2 shown]
	v_dual_add_f32 v136, v136, v143 :: v_dual_fmac_f32 v123, 0x3f167918, v149
	v_dual_add_f32 v137, v138, v148 :: v_dual_add_f32 v138, v139, v145
	v_fmac_f32_e32 v129, 0x3e9e377a, v144
	v_dual_fmac_f32 v132, 0x3f167918, v160 :: v_dual_fmac_f32 v127, 0x3f167918, v169
	v_fmac_f32_e32 v134, 0x3f167918, v159
	v_dual_fmac_f32 v140, 0xbf167918, v159 :: v_dual_add_f32 v139, v146, v156
	v_dual_fmac_f32 v126, 0xbf167918, v160 :: v_dual_fmac_f32 v133, 0xbf167918, v169
	v_dual_fmac_f32 v128, 0x3e9e377a, v175 :: v_dual_fmac_f32 v123, 0x3e9e377a, v144
	;; [unrolled: 1-line block ×8, first 2 shown]
	v_fmac_f32_e32 v140, 0x3e9e377a, v153
	ds_store_b64 v108, v[128:129] offset:2800
	ds_store_b64 v108, v[130:131] offset:5600
	;; [unrolled: 1-line block ×4, first 2 shown]
	ds_store_2addr_b64 v108, v[136:137], v[138:139] offset1:175
	ds_store_b64 v108, v[132:133] offset:4200
	ds_store_b64 v108, v[134:135] offset:7000
	;; [unrolled: 1-line block ×4, first 2 shown]
	global_wb scope:SCOPE_SE
	s_wait_dscnt 0x0
	s_barrier_signal -1
	s_barrier_wait -1
	global_inv scope:SCOPE_SE
	global_load_b64 v[103:104], v[103:104], off offset:14000
	v_lshlrev_b32_e32 v118, 3, v107
	s_clause 0x8
	global_load_b64 v[142:143], v118, s[2:3] offset:1400
	global_load_b64 v[144:145], v118, s[2:3] offset:7000
	;; [unrolled: 1-line block ×9, first 2 shown]
	ds_load_2addr_b64 v[122:125], v108 offset1:175
	v_add_nc_u32_e32 v161, 0x2400, v108
	s_wait_loadcnt_dscnt 0x900
	v_mul_f32_e32 v118, v123, v104
	s_wait_loadcnt 0x8
	v_dual_mul_f32 v127, v122, v104 :: v_dual_mul_f32 v104, v124, v143
	s_delay_alu instid0(VALU_DEP_2) | instskip(NEXT) | instid1(VALU_DEP_2)
	v_fma_f32 v126, v122, v103, -v118
	v_fmac_f32_e32 v127, v123, v103
	v_mul_f32_e32 v103, v125, v143
	ds_store_b64 v108, v[126:127]
	ds_load_2addr_b64 v[126:129], v105 offset0:60 offset1:235
	ds_load_2addr_b64 v[130:133], v73 offset0:26 offset1:201
	;; [unrolled: 1-line block ×4, first 2 shown]
	v_fma_f32 v103, v124, v142, -v103
	v_fmac_f32_e32 v104, v125, v142
	v_add_nc_u32_e32 v118, 0x1a00, v108
	v_add_nc_u32_e32 v160, 0x400, v108
	;; [unrolled: 1-line block ×3, first 2 shown]
	s_wait_loadcnt_dscnt 0x703
	v_mul_f32_e32 v122, v129, v145
	s_wait_loadcnt_dscnt 0x602
	v_dual_mul_f32 v123, v128, v145 :: v_dual_mul_f32 v124, v131, v147
	s_wait_loadcnt_dscnt 0x501
	v_dual_mul_f32 v125, v130, v147 :: v_dual_mul_f32 v142, v135, v149
	v_mul_f32_e32 v143, v134, v149
	s_wait_loadcnt 0x4
	v_mul_f32_e32 v163, v133, v151
	v_mul_f32_e32 v145, v132, v151
	s_wait_loadcnt_dscnt 0x200
	v_mul_f32_e32 v165, v139, v155
	v_dual_mul_f32 v149, v138, v155 :: v_dual_mul_f32 v164, v137, v153
	v_fmac_f32_e32 v125, v131, v146
	v_mul_f32_e32 v147, v136, v153
	s_wait_loadcnt 0x1
	v_mul_f32_e32 v155, v127, v157
	v_mul_f32_e32 v151, v126, v157
	s_wait_loadcnt 0x0
	v_mul_f32_e32 v157, v141, v159
	v_mul_f32_e32 v153, v140, v159
	v_fma_f32 v122, v128, v144, -v122
	v_fmac_f32_e32 v123, v129, v144
	v_fma_f32 v124, v130, v146, -v124
	v_fma_f32 v142, v134, v148, -v142
	v_fmac_f32_e32 v143, v135, v148
	v_fma_f32 v144, v132, v150, -v163
	v_fmac_f32_e32 v145, v133, v150
	;; [unrolled: 2-line block ×6, first 2 shown]
	ds_store_2addr_b64 v118, v[122:123], v[124:125] offset0:43 offset1:218
	ds_store_2addr_b64 v160, v[103:104], v[142:143] offset0:47 offset1:222
	;; [unrolled: 1-line block ×4, first 2 shown]
	ds_store_b64 v108, v[152:153] offset:12600
	global_wb scope:SCOPE_SE
	s_wait_dscnt 0x0
	s_barrier_signal -1
	s_barrier_wait -1
	global_inv scope:SCOPE_SE
	ds_load_2addr_b64 v[122:125], v108 offset1:175
	ds_load_2addr_b64 v[126:129], v105 offset0:60 offset1:235
	ds_load_2addr_b64 v[130:133], v73 offset0:26 offset1:201
	;; [unrolled: 1-line block ×4, first 2 shown]
	global_wb scope:SCOPE_SE
	s_wait_dscnt 0x0
	s_barrier_signal -1
	s_barrier_wait -1
	global_inv scope:SCOPE_SE
	v_dual_sub_f32 v142, v122, v128 :: v_dual_sub_f32 v143, v123, v129
	v_dual_sub_f32 v130, v124, v130 :: v_dual_sub_f32 v131, v125, v131
	;; [unrolled: 1-line block ×5, first 2 shown]
	v_fma_f32 v140, v122, 2.0, -v142
	v_fma_f32 v141, v123, 2.0, -v143
	;; [unrolled: 1-line block ×10, first 2 shown]
	ds_store_b128 v110, v[140:143]
	ds_store_b128 v109, v[128:131]
	;; [unrolled: 1-line block ×5, first 2 shown]
	global_wb scope:SCOPE_SE
	s_wait_dscnt 0x0
	s_barrier_signal -1
	s_barrier_wait -1
	global_inv scope:SCOPE_SE
	ds_load_2addr_b64 v[118:121], v106 offset0:30 offset1:205
	ds_load_2addr_b64 v[122:125], v105 offset0:60 offset1:235
	;; [unrolled: 1-line block ×4, first 2 shown]
	ds_load_2addr_b64 v[134:137], v108 offset1:175
	global_wb scope:SCOPE_SE
	s_wait_dscnt 0x0
	s_barrier_signal -1
	s_barrier_wait -1
	global_inv scope:SCOPE_SE
	v_mul_f32_e32 v103, v13, v119
	v_mul_f32_e32 v104, v15, v123
	v_dual_mul_f32 v15, v15, v122 :: v_dual_mul_f32 v140, v1, v129
	v_mul_f32_e32 v110, v11, v131
	v_mul_f32_e32 v141, v3, v133
	v_dual_mul_f32 v138, v5, v121 :: v_dual_mul_f32 v3, v3, v132
	s_delay_alu instid0(VALU_DEP_4) | instskip(NEXT) | instid1(VALU_DEP_4)
	v_fmac_f32_e32 v140, v0, v128
	v_dual_fmac_f32 v110, v10, v130 :: v_dual_mul_f32 v139, v7, v125
	s_delay_alu instid0(VALU_DEP_4) | instskip(SKIP_3) | instid1(VALU_DEP_4)
	v_fmac_f32_e32 v141, v2, v132
	v_fmac_f32_e32 v104, v14, v122
	;; [unrolled: 1-line block ×3, first 2 shown]
	v_mul_f32_e32 v1, v1, v128
	v_dual_fmac_f32 v139, v6, v124 :: v_dual_sub_f32 v142, v140, v141
	v_fmac_f32_e32 v103, v12, v118
	v_mul_f32_e32 v13, v13, v118
	v_mul_f32_e32 v109, v9, v127
	v_fma_f32 v118, v2, v133, -v3
	s_delay_alu instid0(VALU_DEP_4) | instskip(NEXT) | instid1(VALU_DEP_4)
	v_sub_f32_e32 v2, v103, v104
	v_fma_f32 v12, v12, v119, -v13
	v_fma_f32 v13, v14, v123, -v15
	v_mul_f32_e32 v9, v9, v126
	s_delay_alu instid0(VALU_DEP_2) | instskip(NEXT) | instid1(VALU_DEP_2)
	v_dual_mul_f32 v5, v5, v120 :: v_dual_sub_f32 v122, v12, v13
	v_fma_f32 v9, v8, v127, -v9
	v_mul_f32_e32 v11, v11, v130
	v_dual_mul_f32 v7, v7, v124 :: v_dual_sub_f32 v130, v138, v139
	s_delay_alu instid0(VALU_DEP_3) | instskip(SKIP_1) | instid1(VALU_DEP_4)
	v_add_f32_e32 v14, v13, v9
	v_sub_f32_e32 v120, v13, v9
	v_fma_f32 v15, v10, v131, -v11
	v_add_f32_e32 v10, v135, v12
	s_delay_alu instid0(VALU_DEP_2)
	v_add_f32_e32 v124, v12, v15
	v_fma_f32 v4, v4, v121, -v5
	v_fma_f32 v5, v6, v125, -v7
	v_add_f32_e32 v6, v103, v110
	v_fmac_f32_e32 v109, v8, v126
	v_add_f32_e32 v126, v136, v138
	v_fma_f32 v11, v0, v129, -v1
	v_dual_add_f32 v0, v134, v103 :: v_dual_sub_f32 v123, v15, v9
	v_sub_f32_e32 v128, v4, v118
	v_add_f32_e32 v148, v4, v118
	s_delay_alu instid0(VALU_DEP_4)
	v_add_f32_e32 v144, v5, v11
	v_add_f32_e32 v132, v138, v141
	v_dual_add_f32 v1, v104, v109 :: v_dual_sub_f32 v150, v11, v118
	v_sub_f32_e32 v3, v110, v109
	v_dual_sub_f32 v119, v12, v15 :: v_dual_sub_f32 v8, v109, v110
	v_sub_f32_e32 v131, v141, v140
	v_dual_sub_f32 v133, v139, v138 :: v_dual_sub_f32 v138, v138, v141
	v_sub_f32_e32 v7, v104, v103
	v_sub_f32_e32 v121, v104, v109
	v_add_f32_e32 v104, v0, v104
	v_fma_f32 v0, -0.5, v1, v134
	v_add_f32_e32 v151, v2, v3
	v_fma_f32 v2, -0.5, v6, v134
	v_dual_sub_f32 v103, v103, v110 :: v_dual_sub_f32 v146, v4, v5
	v_dual_add_f32 v127, v139, v140 :: v_dual_add_f32 v122, v122, v123
	v_sub_f32_e32 v129, v5, v11
	v_dual_sub_f32 v147, v118, v11 :: v_dual_fmamk_f32 v6, v119, 0xbf737871, v0
	v_add_f32_e32 v134, v7, v8
	v_fmamk_f32 v8, v120, 0x3f737871, v2
	v_fmac_f32_e32 v2, 0xbf737871, v120
	v_add_f32_e32 v143, v137, v4
	v_sub_f32_e32 v125, v9, v15
	v_fma_f32 v1, -0.5, v14, v135
	v_add_f32_e32 v14, v104, v109
	v_dual_sub_f32 v12, v13, v12 :: v_dual_add_f32 v7, v10, v13
	v_dual_sub_f32 v149, v5, v4 :: v_dual_add_f32 v10, v126, v139
	v_fma_f32 v4, -0.5, v127, v136
	v_dual_add_f32 v126, v146, v147 :: v_dual_add_f32 v13, v143, v5
	v_add_f32_e32 v14, v14, v110
	v_fma_f32 v3, -0.5, v124, v135
	v_fma_f32 v5, -0.5, v144, v137
	v_dual_sub_f32 v145, v139, v140 :: v_dual_fmac_f32 v0, 0x3f737871, v119
	v_fma_f32 v136, -0.5, v132, v136
	v_dual_fmac_f32 v137, -0.5, v148 :: v_dual_add_f32 v124, v130, v131
	v_dual_add_f32 v130, v13, v11 :: v_dual_add_f32 v109, v10, v140
	v_fmac_f32_e32 v8, 0xbf167918, v119
	v_fmamk_f32 v10, v128, 0xbf737871, v4
	v_fmac_f32_e32 v4, 0x3f737871, v128
	v_add_f32_e32 v104, v7, v9
	v_fmamk_f32 v7, v103, 0x3f737871, v1
	v_fmamk_f32 v9, v121, 0xbf737871, v3
	v_fmac_f32_e32 v3, 0x3f737871, v121
	v_fmac_f32_e32 v1, 0xbf737871, v103
	v_fmamk_f32 v11, v138, 0x3f737871, v5
	v_dual_add_f32 v123, v12, v125 :: v_dual_fmamk_f32 v12, v129, 0x3f737871, v136
	v_dual_add_f32 v125, v133, v142 :: v_dual_fmac_f32 v136, 0xbf737871, v129
	v_fmac_f32_e32 v5, 0xbf737871, v138
	v_fmamk_f32 v13, v145, 0xbf737871, v137
	v_fmac_f32_e32 v137, 0x3f737871, v145
	v_dual_add_f32 v127, v149, v150 :: v_dual_fmac_f32 v6, 0xbf167918, v120
	v_dual_fmac_f32 v0, 0x3f167918, v120 :: v_dual_add_f32 v15, v104, v15
	v_add_f32_e32 v104, v130, v118
	v_dual_fmac_f32 v2, 0x3f167918, v119 :: v_dual_fmac_f32 v7, 0x3f167918, v121
	v_dual_fmac_f32 v9, 0x3f167918, v103 :: v_dual_fmac_f32 v4, 0x3f167918, v129
	;; [unrolled: 1-line block ×4, first 2 shown]
	v_fmac_f32_e32 v11, 0x3f167918, v145
	v_dual_add_f32 v103, v109, v141 :: v_dual_fmac_f32 v136, 0x3f167918, v128
	v_fmac_f32_e32 v5, 0xbf167918, v145
	v_fmac_f32_e32 v13, 0x3f167918, v138
	;; [unrolled: 1-line block ×3, first 2 shown]
	v_dual_fmac_f32 v6, 0x3e9e377a, v151 :: v_dual_fmac_f32 v7, 0x3e9e377a, v122
	v_dual_fmac_f32 v8, 0x3e9e377a, v134 :: v_dual_fmac_f32 v9, 0x3e9e377a, v123
	;; [unrolled: 1-line block ×8, first 2 shown]
	ds_store_2addr_b64 v112, v[14:15], v[6:7] offset1:2
	ds_store_2addr_b64 v112, v[8:9], v[2:3] offset0:4 offset1:6
	ds_store_b64 v112, v[0:1] offset:64
	ds_store_2addr_b64 v111, v[103:104], v[10:11] offset1:2
	ds_store_2addr_b64 v111, v[12:13], v[136:137] offset0:4 offset1:6
	ds_store_b64 v111, v[4:5] offset:64
	global_wb scope:SCOPE_SE
	s_wait_dscnt 0x0
	s_barrier_signal -1
	s_barrier_wait -1
	global_inv scope:SCOPE_SE
	ds_load_2addr_b64 v[4:7], v106 offset0:30 offset1:205
	ds_load_2addr_b64 v[8:11], v105 offset0:60 offset1:235
	;; [unrolled: 1-line block ×4, first 2 shown]
	ds_load_2addr_b64 v[0:3], v108 offset1:175
	v_add_nc_u32_e32 v110, 0x1f40, v108
	global_wb scope:SCOPE_SE
	s_wait_dscnt 0x0
	s_barrier_signal -1
	s_barrier_wait -1
	global_inv scope:SCOPE_SE
	v_mul_f32_e32 v72, v25, v5
	v_dual_mul_f32 v73, v27, v9 :: v_dual_mul_f32 v118, v21, v7
	v_mul_f32_e32 v112, v31, v104
	v_dual_mul_f32 v120, v17, v15 :: v_dual_mul_f32 v121, v19, v106
	v_mul_f32_e32 v27, v27, v8
	v_fmac_f32_e32 v72, v24, v4
	s_delay_alu instid0(VALU_DEP_4)
	v_dual_fmac_f32 v112, v30, v103 :: v_dual_mul_f32 v111, v29, v13
	v_dual_fmac_f32 v118, v20, v6 :: v_dual_mul_f32 v25, v25, v4
	v_dual_fmac_f32 v120, v16, v14 :: v_dual_fmac_f32 v121, v18, v105
	v_mul_f32_e32 v29, v29, v12
	v_mul_f32_e32 v17, v17, v14
	;; [unrolled: 1-line block ×4, first 2 shown]
	v_fma_f32 v4, v24, v5, -v25
	v_mul_f32_e32 v119, v23, v11
	v_fma_f32 v5, v26, v9, -v27
	v_dual_mul_f32 v23, v23, v10 :: v_dual_add_f32 v122, v118, v121
	v_fma_f32 v9, v28, v13, -v29
	v_sub_f32_e32 v124, v120, v121
	v_fma_f32 v13, v16, v15, -v17
	v_fma_f32 v17, v18, v106, -v19
	v_fmac_f32_e32 v73, v26, v8
	v_add_f32_e32 v14, v72, v112
	v_fmac_f32_e32 v111, v28, v12
	v_sub_f32_e32 v28, v5, v4
	v_fma_f32 v8, v22, v11, -v23
	v_dual_sub_f32 v132, v13, v17 :: v_dual_mul_f32 v31, v31, v103
	v_dual_sub_f32 v18, v73, v72 :: v_dual_sub_f32 v11, v72, v73
	v_dual_fmac_f32 v119, v22, v10 :: v_dual_sub_f32 v22, v72, v112
	v_fma_f32 v6, v20, v7, -v21
	s_delay_alu instid0(VALU_DEP_4) | instskip(SKIP_2) | instid1(VALU_DEP_4)
	v_fma_f32 v24, v30, v104, -v31
	v_sub_f32_e32 v104, v8, v13
	v_dual_add_f32 v7, v0, v72 :: v_dual_sub_f32 v16, v5, v9
	v_dual_add_f32 v130, v6, v17 :: v_dual_add_f32 v125, v3, v6
	v_add_f32_e32 v30, v2, v118
	v_sub_f32_e32 v103, v6, v17
	v_sub_f32_e32 v105, v118, v119
	v_dual_sub_f32 v123, v119, v118 :: v_dual_sub_f32 v128, v6, v8
	v_sub_f32_e32 v131, v8, v6
	v_fma_f32 v6, -0.5, v14, v0
	v_add_f32_e32 v14, v125, v8
	v_sub_f32_e32 v118, v118, v121
	v_sub_f32_e32 v12, v112, v111
	v_add_f32_e32 v10, v73, v111
	v_add_f32_e32 v20, v1, v4
	v_sub_f32_e32 v19, v111, v112
	v_sub_f32_e32 v15, v4, v24
	v_add_f32_e32 v134, v11, v12
	v_add_f32_e32 v31, v119, v120
	;; [unrolled: 1-line block ×4, first 2 shown]
	v_sub_f32_e32 v25, v4, v5
	v_fma_f32 v4, -0.5, v10, v0
	v_add_f32_e32 v0, v20, v5
	v_dual_add_f32 v18, v18, v19 :: v_dual_add_f32 v21, v5, v9
	v_fmamk_f32 v10, v16, 0x3f737871, v6
	v_fma_f32 v72, -0.5, v31, v2
	v_add_f32_e32 v126, v8, v13
	v_fmamk_f32 v8, v15, 0xbf737871, v4
	v_fma_f32 v5, -0.5, v21, v1
	v_dual_fmac_f32 v6, 0xbf737871, v16 :: v_dual_sub_f32 v129, v17, v13
	v_dual_fmamk_f32 v12, v103, 0xbf737871, v72 :: v_dual_sub_f32 v29, v9, v24
	v_sub_f32_e32 v23, v73, v111
	v_fmac_f32_e32 v4, 0x3f737871, v15
	v_fma_f32 v7, -0.5, v27, v1
	v_fma_f32 v2, -0.5, v122, v2
	v_add_f32_e32 v20, v28, v29
	v_fma_f32 v73, -0.5, v126, v3
	v_dual_sub_f32 v127, v119, v120 :: v_dual_fmac_f32 v10, 0xbf167918, v15
	v_dual_add_f32 v1, v30, v119 :: v_dual_fmac_f32 v4, 0x3f167918, v16
	v_dual_fmac_f32 v3, -0.5, v130 :: v_dual_fmac_f32 v12, 0xbf167918, v104
	v_dual_sub_f32 v26, v24, v9 :: v_dual_add_nc_u32 v109, 0xf80, v108
	v_dual_fmac_f32 v72, 0x3f737871, v103 :: v_dual_add_f32 v29, v0, v9
	v_dual_fmamk_f32 v9, v22, 0x3f737871, v5 :: v_dual_sub_f32 v106, v121, v120
	v_fmamk_f32 v11, v23, 0xbf737871, v7
	s_delay_alu instid0(VALU_DEP_3)
	v_fmac_f32_e32 v72, 0x3f167918, v104
	v_fmac_f32_e32 v7, 0x3f737871, v23
	;; [unrolled: 1-line block ×3, first 2 shown]
	v_fmamk_f32 v0, v104, 0x3f737871, v2
	v_dual_fmac_f32 v2, 0xbf737871, v104 :: v_dual_add_f32 v31, v14, v13
	v_dual_fmamk_f32 v13, v118, 0x3f737871, v73 :: v_dual_add_f32 v30, v1, v120
	v_fmamk_f32 v1, v127, 0xbf737871, v3
	s_delay_alu instid0(VALU_DEP_3)
	v_fmac_f32_e32 v2, 0x3f167918, v103
	v_fmac_f32_e32 v3, 0x3f737871, v127
	v_add_f32_e32 v28, v133, v111
	v_dual_add_f32 v19, v25, v26 :: v_dual_fmac_f32 v8, 0xbf167918, v16
	v_fmac_f32_e32 v73, 0xbf737871, v118
	v_fmac_f32_e32 v9, 0x3f167918, v23
	v_dual_add_f32 v21, v105, v106 :: v_dual_fmac_f32 v6, 0x3f167918, v15
	v_fmac_f32_e32 v11, 0x3f167918, v22
	v_fmac_f32_e32 v7, 0xbf167918, v22
	;; [unrolled: 1-line block ×3, first 2 shown]
	v_dual_add_f32 v25, v123, v124 :: v_dual_add_f32 v16, v30, v121
	v_dual_add_f32 v26, v128, v129 :: v_dual_add_f32 v27, v131, v132
	v_fmac_f32_e32 v0, 0xbf167918, v103
	v_fmac_f32_e32 v13, 0x3f167918, v127
	;; [unrolled: 1-line block ×3, first 2 shown]
	v_dual_fmac_f32 v3, 0xbf167918, v118 :: v_dual_add_f32 v14, v28, v112
	v_dual_add_f32 v15, v29, v24 :: v_dual_fmac_f32 v8, 0x3e9e377a, v134
	v_fmac_f32_e32 v73, 0xbf167918, v127
	v_dual_fmac_f32 v10, 0x3e9e377a, v18 :: v_dual_fmac_f32 v9, 0x3e9e377a, v19
	v_dual_fmac_f32 v6, 0x3e9e377a, v18 :: v_dual_fmac_f32 v5, 0x3e9e377a, v19
	v_dual_fmac_f32 v11, 0x3e9e377a, v20 :: v_dual_fmac_f32 v12, 0x3e9e377a, v21
	v_dual_fmac_f32 v7, 0x3e9e377a, v20 :: v_dual_fmac_f32 v72, 0x3e9e377a, v21
	v_dual_add_f32 v17, v31, v17 :: v_dual_fmac_f32 v4, 0x3e9e377a, v134
	v_dual_fmac_f32 v0, 0x3e9e377a, v25 :: v_dual_fmac_f32 v13, 0x3e9e377a, v26
	v_dual_fmac_f32 v2, 0x3e9e377a, v25 :: v_dual_fmac_f32 v73, 0x3e9e377a, v26
	v_fmac_f32_e32 v1, 0x3e9e377a, v27
	v_fmac_f32_e32 v3, 0x3e9e377a, v27
	ds_store_2addr_b64 v116, v[14:15], v[8:9] offset1:10
	ds_store_2addr_b64 v116, v[10:11], v[6:7] offset0:20 offset1:30
	ds_store_b64 v116, v[4:5] offset:320
	ds_store_2addr_b64 v115, v[16:17], v[12:13] offset1:10
	ds_store_2addr_b64 v115, v[0:1], v[2:3] offset0:20 offset1:30
	ds_store_b64 v115, v[72:73] offset:320
	global_wb scope:SCOPE_SE
	s_wait_dscnt 0x0
	s_barrier_signal -1
	s_barrier_wait -1
	global_inv scope:SCOPE_SE
	ds_load_2addr_b64 v[4:7], v108 offset1:250
	ds_load_2addr_b64 v[12:15], v109 offset0:4 offset1:254
	ds_load_2addr_b64 v[8:11], v110 offset1:250
	ds_load_b64 v[16:17], v108 offset:12000
	s_and_saveexec_b32 s2, vcc_lo
	s_cbranch_execz .LBB0_7
; %bb.6:
	v_add_nc_u32_e32 v0, 0x560, v108
	v_add_nc_u32_e32 v18, 0x1500, v108
	;; [unrolled: 1-line block ×3, first 2 shown]
	ds_load_2addr_b64 v[0:3], v0 offset0:3 offset1:253
	ds_load_2addr_b64 v[72:75], v18 offset0:3 offset1:253
	;; [unrolled: 1-line block ×3, first 2 shown]
	ds_load_b64 v[101:102], v108 offset:13400
.LBB0_7:
	s_wait_alu 0xfffe
	s_or_b32 exec_lo, exec_lo, s2
	s_wait_dscnt 0x2
	v_dual_mul_f32 v18, v53, v7 :: v_dual_mul_f32 v21, v55, v12
	v_dual_mul_f32 v19, v53, v6 :: v_dual_mul_f32 v20, v55, v13
	global_wb scope:SCOPE_SE
	s_wait_dscnt 0x0
	v_fmac_f32_e32 v18, v52, v6
	v_mul_f32_e32 v22, v51, v9
	v_fma_f32 v6, v52, v7, -v19
	v_mul_f32_e32 v7, v49, v15
	v_dual_mul_f32 v19, v49, v14 :: v_dual_fmac_f32 v20, v54, v12
	v_fma_f32 v12, v54, v13, -v21
	s_delay_alu instid0(VALU_DEP_3) | instskip(NEXT) | instid1(VALU_DEP_3)
	v_dual_fmac_f32 v22, v50, v8 :: v_dual_fmac_f32 v7, v48, v14
	v_fma_f32 v13, v48, v15, -v19
	v_dual_mul_f32 v19, v45, v11 :: v_dual_mul_f32 v14, v47, v17
	v_dual_mul_f32 v21, v45, v10 :: v_dual_mul_f32 v8, v51, v8
	s_barrier_signal -1
	s_delay_alu instid0(VALU_DEP_2) | instskip(SKIP_1) | instid1(VALU_DEP_3)
	v_dual_fmac_f32 v19, v44, v10 :: v_dual_fmac_f32 v14, v46, v16
	v_mul_f32_e32 v15, v47, v16
	v_fma_f32 v8, v50, v9, -v8
	v_fma_f32 v9, v44, v11, -v21
	s_barrier_wait -1
	v_add_f32_e32 v10, v18, v14
	v_fma_f32 v15, v46, v17, -v15
	v_sub_f32_e32 v17, v20, v19
	v_add_f32_e32 v16, v12, v9
	v_dual_sub_f32 v9, v12, v9 :: v_dual_add_f32 v12, v7, v22
	v_sub_f32_e32 v7, v22, v7
	v_add_f32_e32 v11, v6, v15
	v_sub_f32_e32 v6, v6, v15
	v_dual_add_f32 v15, v20, v19 :: v_dual_sub_f32 v14, v18, v14
	v_add_f32_e32 v18, v13, v8
	v_sub_f32_e32 v8, v8, v13
	s_delay_alu instid0(VALU_DEP_3)
	v_dual_add_f32 v19, v16, v11 :: v_dual_sub_f32 v20, v15, v10
	v_add_f32_e32 v13, v15, v10
	v_dual_sub_f32 v21, v16, v11 :: v_dual_sub_f32 v10, v10, v12
	v_sub_f32_e32 v11, v11, v18
	v_dual_sub_f32 v15, v12, v15 :: v_dual_sub_f32 v16, v18, v16
	v_add_f32_e32 v23, v8, v9
	v_dual_add_f32 v12, v12, v13 :: v_dual_add_f32 v13, v18, v19
	v_add_f32_e32 v22, v7, v17
	v_dual_sub_f32 v24, v7, v17 :: v_dual_sub_f32 v17, v17, v14
	v_dual_sub_f32 v25, v8, v9 :: v_dual_sub_f32 v8, v6, v8
	s_delay_alu instid0(VALU_DEP_4)
	v_dual_sub_f32 v9, v9, v6 :: v_dual_add_f32 v4, v4, v12
	v_dual_add_f32 v6, v23, v6 :: v_dual_add_f32 v5, v5, v13
	v_dual_mul_f32 v10, 0x3f4a47b2, v10 :: v_dual_mul_f32 v11, 0x3f4a47b2, v11
	v_sub_f32_e32 v7, v14, v7
	v_add_f32_e32 v14, v22, v14
	v_dual_mul_f32 v18, 0x3d64c772, v15 :: v_dual_mul_f32 v19, 0x3d64c772, v16
	v_dual_mul_f32 v22, 0x3f08b237, v24 :: v_dual_mul_f32 v23, 0x3f08b237, v25
	v_dual_fmamk_f32 v12, v12, 0xbf955555, v4 :: v_dual_fmamk_f32 v13, v13, 0xbf955555, v5
	v_dual_fmamk_f32 v15, v15, 0x3d64c772, v10 :: v_dual_fmamk_f32 v16, v16, 0x3d64c772, v11
	v_mul_f32_e32 v24, 0xbf5ff5aa, v17
	v_fma_f32 v10, 0xbf3bfb3b, v20, -v10
	v_mul_f32_e32 v25, 0xbf5ff5aa, v9
	v_fma_f32 v18, 0x3f3bfb3b, v20, -v18
	v_fma_f32 v19, 0x3f3bfb3b, v21, -v19
	;; [unrolled: 1-line block ×3, first 2 shown]
	v_dual_fmamk_f32 v20, v7, 0xbeae86e6, v22 :: v_dual_fmamk_f32 v21, v8, 0xbeae86e6, v23
	v_fma_f32 v17, 0xbf5ff5aa, v17, -v22
	v_fma_f32 v22, 0xbf5ff5aa, v9, -v23
	v_fma_f32 v23, 0x3eae86e6, v7, -v24
	v_fma_f32 v24, 0x3eae86e6, v8, -v25
	v_dual_add_f32 v25, v15, v12 :: v_dual_add_f32 v26, v16, v13
	v_dual_add_f32 v15, v18, v12 :: v_dual_add_f32 v16, v19, v13
	v_fmac_f32_e32 v21, 0xbee1c552, v6
	v_dual_add_f32 v19, v11, v13 :: v_dual_fmac_f32 v20, 0xbee1c552, v14
	v_dual_add_f32 v18, v10, v12 :: v_dual_fmac_f32 v17, 0xbee1c552, v14
	v_fmac_f32_e32 v24, 0xbee1c552, v6
	v_fmac_f32_e32 v22, 0xbee1c552, v6
	v_dual_fmac_f32 v23, 0xbee1c552, v14 :: v_dual_add_f32 v6, v21, v25
	s_delay_alu instid0(VALU_DEP_3) | instskip(NEXT) | instid1(VALU_DEP_3)
	v_dual_sub_f32 v7, v26, v20 :: v_dual_add_f32 v8, v24, v18
	v_dual_add_f32 v11, v17, v16 :: v_dual_add_f32 v12, v22, v15
	s_delay_alu instid0(VALU_DEP_3)
	v_sub_f32_e32 v9, v19, v23
	v_dual_sub_f32 v10, v15, v22 :: v_dual_sub_f32 v13, v16, v17
	v_dual_sub_f32 v14, v18, v24 :: v_dual_add_f32 v15, v23, v19
	v_dual_sub_f32 v16, v25, v21 :: v_dual_add_f32 v17, v20, v26
	global_inv scope:SCOPE_SE
	ds_store_2addr_b64 v117, v[4:5], v[6:7] offset1:50
	ds_store_2addr_b64 v117, v[8:9], v[10:11] offset0:100 offset1:150
	ds_store_2addr_b64 v117, v[12:13], v[14:15] offset0:200 offset1:250
	ds_store_b64 v117, v[16:17] offset:2400
	s_and_saveexec_b32 s2, vcc_lo
	s_cbranch_execz .LBB0_9
; %bb.8:
	v_dual_mul_f32 v4, v35, v77 :: v_dual_mul_f32 v5, v33, v75
	v_dual_mul_f32 v6, v37, v3 :: v_dual_mul_f32 v7, v43, v102
	;; [unrolled: 1-line block ×3, first 2 shown]
	s_delay_alu instid0(VALU_DEP_3) | instskip(NEXT) | instid1(VALU_DEP_3)
	v_dual_fmac_f32 v4, v34, v76 :: v_dual_fmac_f32 v5, v32, v74
	v_dual_mul_f32 v9, v43, v101 :: v_dual_fmac_f32 v6, v36, v2
	s_delay_alu instid0(VALU_DEP_4) | instskip(NEXT) | instid1(VALU_DEP_3)
	v_dual_fmac_f32 v7, v42, v101 :: v_dual_mul_f32 v2, v37, v2
	v_dual_sub_f32 v10, v4, v5 :: v_dual_mul_f32 v13, v39, v72
	s_delay_alu instid0(VALU_DEP_2)
	v_dual_mul_f32 v12, v41, v78 :: v_dual_sub_f32 v19, v6, v7
	v_fmac_f32_e32 v8, v38, v72
	v_fma_f32 v9, v42, v102, -v9
	v_fma_f32 v2, v36, v3, -v2
	v_dual_mul_f32 v3, v33, v74 :: v_dual_mul_f32 v14, v35, v76
	v_fmac_f32_e32 v11, v40, v78
	v_fma_f32 v12, v40, v79, -v12
	v_fma_f32 v13, v38, v73, -v13
	s_delay_alu instid0(VALU_DEP_4)
	v_fma_f32 v15, v32, v75, -v3
	v_fma_f32 v14, v34, v77, -v14
	v_add_f32_e32 v16, v9, v2
	v_sub_f32_e32 v18, v8, v11
	v_add_f32_e32 v17, v12, v13
	v_sub_f32_e32 v23, v19, v10
	v_dual_add_f32 v3, v15, v14 :: v_dual_add_f32 v4, v5, v4
	s_delay_alu instid0(VALU_DEP_3) | instskip(SKIP_1) | instid1(VALU_DEP_3)
	v_dual_sub_f32 v21, v10, v18 :: v_dual_add_f32 v20, v17, v16
	v_add_f32_e32 v10, v10, v18
	v_sub_f32_e32 v22, v16, v3
	s_delay_alu instid0(VALU_DEP_3) | instskip(NEXT) | instid1(VALU_DEP_4)
	v_dual_sub_f32 v12, v13, v12 :: v_dual_mul_f32 v21, 0x3f08b237, v21
	v_add_f32_e32 v20, v3, v20
	s_delay_alu instid0(VALU_DEP_3) | instskip(SKIP_1) | instid1(VALU_DEP_3)
	v_dual_sub_f32 v3, v3, v17 :: v_dual_mul_f32 v22, 0x3f4a47b2, v22
	v_add_f32_e32 v5, v11, v8
	v_dual_add_f32 v6, v7, v6 :: v_dual_add_f32 v1, v1, v20
	s_delay_alu instid0(VALU_DEP_3) | instskip(NEXT) | instid1(VALU_DEP_4)
	v_mul_f32_e32 v7, 0x3d64c772, v3
	v_dual_add_f32 v10, v10, v19 :: v_dual_fmamk_f32 v25, v3, 0x3d64c772, v22
	s_delay_alu instid0(VALU_DEP_4) | instskip(NEXT) | instid1(VALU_DEP_4)
	v_sub_f32_e32 v13, v4, v5
	v_fmamk_f32 v20, v20, 0xbf955555, v1
	v_dual_fmamk_f32 v24, v23, 0xbeae86e6, v21 :: v_dual_add_f32 v11, v5, v6
	v_sub_f32_e32 v14, v14, v15
	s_delay_alu instid0(VALU_DEP_3) | instskip(NEXT) | instid1(VALU_DEP_3)
	v_dual_sub_f32 v2, v2, v9 :: v_dual_add_f32 v25, v25, v20
	v_dual_fmac_f32 v24, 0xbee1c552, v10 :: v_dual_sub_f32 v15, v18, v19
	s_delay_alu instid0(VALU_DEP_1) | instskip(SKIP_2) | instid1(VALU_DEP_4)
	v_dual_add_f32 v3, v24, v25 :: v_dual_sub_f32 v8, v6, v4
	v_dual_add_f32 v4, v4, v11 :: v_dual_mul_f32 v11, 0x3d64c772, v13
	v_sub_f32_e32 v9, v14, v12
	v_dual_sub_f32 v18, v2, v14 :: v_dual_mul_f32 v19, 0xbf5ff5aa, v15
	s_delay_alu instid0(VALU_DEP_3) | instskip(NEXT) | instid1(VALU_DEP_3)
	v_add_f32_e32 v0, v0, v4
	v_dual_sub_f32 v6, v5, v6 :: v_dual_mul_f32 v9, 0x3f08b237, v9
	v_sub_f32_e32 v16, v17, v16
	s_delay_alu instid0(VALU_DEP_4) | instskip(SKIP_1) | instid1(VALU_DEP_4)
	v_fma_f32 v19, 0x3eae86e6, v23, -v19
	v_add_f32_e32 v14, v14, v12
	v_fmamk_f32 v17, v18, 0xbeae86e6, v9
	s_delay_alu instid0(VALU_DEP_4) | instskip(NEXT) | instid1(VALU_DEP_4)
	v_fma_f32 v22, 0xbf3bfb3b, v16, -v22
	v_fmac_f32_e32 v19, 0xbee1c552, v10
	v_fma_f32 v7, 0x3f3bfb3b, v16, -v7
	v_fmamk_f32 v4, v4, 0xbf955555, v0
	v_sub_f32_e32 v12, v12, v2
	v_add_f32_e32 v2, v14, v2
	v_add_f32_e32 v14, v22, v20
	v_mul_f32_e32 v8, 0x3f4a47b2, v8
	s_delay_alu instid0(VALU_DEP_2) | instskip(NEXT) | instid1(VALU_DEP_2)
	v_dual_mul_f32 v22, 0xbf5ff5aa, v12 :: v_dual_add_f32 v5, v19, v14
	v_fmamk_f32 v13, v13, 0x3d64c772, v8
	v_fma_f32 v8, 0xbf3bfb3b, v6, -v8
	s_delay_alu instid0(VALU_DEP_3) | instskip(NEXT) | instid1(VALU_DEP_2)
	v_fma_f32 v18, 0x3eae86e6, v18, -v22
	v_add_f32_e32 v22, v8, v4
	v_fma_f32 v8, 0xbf5ff5aa, v15, -v21
	v_fma_f32 v15, 0xbf5ff5aa, v12, -v9
	v_add_f32_e32 v9, v7, v20
	v_add_f32_e32 v23, v13, v4
	s_delay_alu instid0(VALU_DEP_4) | instskip(NEXT) | instid1(VALU_DEP_1)
	v_dual_sub_f32 v13, v25, v24 :: v_dual_fmac_f32 v8, 0xbee1c552, v10
	v_sub_f32_e32 v7, v9, v8
	v_fmac_f32_e32 v15, 0xbee1c552, v2
	v_fmac_f32_e32 v17, 0xbee1c552, v2
	;; [unrolled: 1-line block ×3, first 2 shown]
	v_mad_u16 v2, 0x15e, v113, v114
	v_add_f32_e32 v9, v8, v9
	v_fma_f32 v6, 0x3f3bfb3b, v6, -v11
	v_sub_f32_e32 v11, v14, v19
	v_add_f32_e32 v12, v17, v23
	v_and_b32_e32 v2, 0xffff, v2
	v_add_f32_e32 v10, v18, v22
	v_add_f32_e32 v6, v6, v4
	v_sub_f32_e32 v4, v22, v18
	s_delay_alu instid0(VALU_DEP_4) | instskip(SKIP_1) | instid1(VALU_DEP_4)
	v_lshlrev_b32_e32 v14, 3, v2
	v_sub_f32_e32 v2, v23, v17
	v_sub_f32_e32 v8, v6, v15
	v_add_f32_e32 v6, v15, v6
	ds_store_2addr_b64 v14, v[0:1], v[12:13] offset1:50
	ds_store_2addr_b64 v14, v[10:11], v[8:9] offset0:100 offset1:150
	ds_store_2addr_b64 v14, v[6:7], v[4:5] offset0:200 offset1:250
	ds_store_b64 v14, v[2:3] offset:2400
.LBB0_9:
	s_wait_alu 0xfffe
	s_or_b32 exec_lo, exec_lo, s2
	v_add_nc_u32_e32 v22, 0xa00, v108
	global_wb scope:SCOPE_SE
	s_wait_dscnt 0x0
	s_barrier_signal -1
	s_barrier_wait -1
	global_inv scope:SCOPE_SE
	ds_load_2addr_b64 v[0:3], v22 offset0:30 offset1:205
	v_add_nc_u32_e32 v20, 0x1400, v108
	v_add_nc_u32_e32 v23, 0x2000, v108
	;; [unrolled: 1-line block ×3, first 2 shown]
	s_mov_b32 s2, 0x835d548e
	s_mov_b32 s3, 0x3f42b97d
	s_wait_dscnt 0x0
	v_mul_f32_e32 v32, v65, v3
	ds_load_2addr_b64 v[4:7], v20 offset0:60 offset1:235
	ds_load_2addr_b64 v[8:11], v23 offset0:26 offset1:201
	ds_load_2addr_b64 v[12:15], v30 offset0:56 offset1:231
	ds_load_2addr_b64 v[16:19], v108 offset1:175
	v_mul_f32_e32 v21, v61, v1
	v_mul_f32_e32 v24, v61, v0
	;; [unrolled: 1-line block ×3, first 2 shown]
	v_fmac_f32_e32 v32, v64, v2
	s_delay_alu instid0(VALU_DEP_4)
	v_fmac_f32_e32 v21, v60, v0
	s_wait_dscnt 0x3
	v_mul_f32_e32 v25, v63, v5
	s_wait_dscnt 0x2
	v_mul_f32_e32 v27, v69, v9
	;; [unrolled: 2-line block ×3, first 2 shown]
	v_mul_f32_e32 v26, v63, v4
	v_mul_f32_e32 v31, v71, v12
	v_dual_mul_f32 v34, v67, v7 :: v_dual_fmac_f32 v25, v62, v4
	v_dual_mul_f32 v0, v67, v6 :: v_dual_fmac_f32 v27, v68, v8
	v_fma_f32 v24, v60, v1, -v24
	s_delay_alu instid0(VALU_DEP_3)
	v_fmac_f32_e32 v34, v66, v6
	v_fmac_f32_e32 v29, v70, v12
	v_fma_f32 v12, v70, v13, -v31
	v_fma_f32 v31, v64, v3, -v33
	;; [unrolled: 1-line block ×3, first 2 shown]
	v_add_f32_e32 v0, v25, v27
	v_dual_mul_f32 v28, v69, v8 :: v_dual_mul_f32 v13, v59, v15
	s_wait_dscnt 0x0
	v_dual_mul_f32 v35, v57, v11 :: v_dual_add_f32 v2, v16, v21
	s_delay_alu instid0(VALU_DEP_3)
	v_fma_f32 v0, -0.5, v0, v16
	v_dual_sub_f32 v3, v24, v12 :: v_dual_sub_f32 v4, v21, v25
	v_mul_f32_e32 v1, v57, v10
	v_fma_f32 v26, v62, v5, -v26
	v_fma_f32 v28, v68, v9, -v28
	v_dual_fmac_f32 v35, v56, v10 :: v_dual_sub_f32 v6, v29, v27
	s_delay_alu instid0(VALU_DEP_4) | instskip(SKIP_2) | instid1(VALU_DEP_4)
	v_fma_f32 v36, v56, v11, -v1
	v_dual_add_f32 v1, v2, v25 :: v_dual_mul_f32 v8, v59, v14
	v_dual_add_f32 v7, v21, v29 :: v_dual_fmamk_f32 v2, v3, 0xbf737871, v0
	v_dual_fmac_f32 v0, 0x3f737871, v3 :: v_dual_add_f32 v9, v4, v6
	s_delay_alu instid0(VALU_DEP_3) | instskip(SKIP_1) | instid1(VALU_DEP_4)
	v_add_f32_e32 v1, v1, v27
	v_sub_f32_e32 v5, v26, v28
	v_fma_f32 v4, -0.5, v7, v16
	v_fma_f32 v15, v58, v15, -v8
	v_dual_sub_f32 v7, v27, v29 :: v_dual_add_f32 v10, v17, v24
	v_add_f32_e32 v6, v1, v29
	s_delay_alu instid0(VALU_DEP_4) | instskip(SKIP_3) | instid1(VALU_DEP_4)
	v_fmamk_f32 v8, v5, 0x3f737871, v4
	v_sub_f32_e32 v1, v25, v21
	v_dual_fmac_f32 v0, 0x3f167918, v5 :: v_dual_add_f32 v11, v26, v28
	v_dual_fmac_f32 v13, v58, v14 :: v_dual_fmac_f32 v2, 0xbf167918, v5
	v_fmac_f32_e32 v8, 0xbf167918, v3
	s_delay_alu instid0(VALU_DEP_4) | instskip(NEXT) | instid1(VALU_DEP_4)
	v_dual_add_f32 v7, v1, v7 :: v_dual_fmac_f32 v4, 0xbf737871, v5
	v_dual_add_f32 v5, v10, v26 :: v_dual_fmac_f32 v0, 0x3e9e377a, v9
	v_fma_f32 v1, -0.5, v11, v17
	s_delay_alu instid0(VALU_DEP_3) | instskip(SKIP_1) | instid1(VALU_DEP_4)
	v_dual_sub_f32 v11, v21, v29 :: v_dual_fmac_f32 v8, 0x3e9e377a, v7
	v_fmac_f32_e32 v2, 0x3e9e377a, v9
	v_dual_fmac_f32 v4, 0x3f167918, v3 :: v_dual_add_f32 v9, v5, v28
	s_delay_alu instid0(VALU_DEP_3) | instskip(NEXT) | instid1(VALU_DEP_2)
	v_dual_fmamk_f32 v3, v11, 0x3f737871, v1 :: v_dual_sub_f32 v10, v25, v27
	v_dual_add_f32 v5, v24, v12 :: v_dual_fmac_f32 v4, 0x3e9e377a, v7
	s_delay_alu instid0(VALU_DEP_3) | instskip(NEXT) | instid1(VALU_DEP_3)
	v_dual_sub_f32 v14, v24, v26 :: v_dual_add_f32 v7, v9, v12
	v_dual_sub_f32 v16, v12, v28 :: v_dual_fmac_f32 v3, 0x3f167918, v10
	s_delay_alu instid0(VALU_DEP_3) | instskip(SKIP_1) | instid1(VALU_DEP_3)
	v_fma_f32 v5, -0.5, v5, v17
	v_dual_fmac_f32 v1, 0xbf737871, v11 :: v_dual_sub_f32 v12, v28, v12
	v_add_f32_e32 v14, v14, v16
	v_sub_f32_e32 v16, v26, v24
	s_delay_alu instid0(VALU_DEP_4)
	v_fmamk_f32 v9, v10, 0xbf737871, v5
	v_add_f32_e32 v17, v34, v35
	v_dual_fmac_f32 v5, 0x3f737871, v10 :: v_dual_sub_f32 v24, v13, v35
	v_fmac_f32_e32 v3, 0x3e9e377a, v14
	v_dual_fmac_f32 v1, 0xbf167918, v10 :: v_dual_add_f32 v16, v16, v12
	v_dual_fmac_f32 v9, 0x3f167918, v11 :: v_dual_add_f32 v12, v18, v32
	s_delay_alu instid0(VALU_DEP_4) | instskip(NEXT) | instid1(VALU_DEP_3)
	v_fmac_f32_e32 v5, 0xbf167918, v11
	v_fmac_f32_e32 v1, 0x3e9e377a, v14
	v_sub_f32_e32 v14, v32, v34
	v_fma_f32 v10, -0.5, v17, v18
	v_sub_f32_e32 v21, v33, v36
	v_sub_f32_e32 v17, v31, v15
	s_delay_alu instid0(VALU_DEP_4) | instskip(SKIP_1) | instid1(VALU_DEP_3)
	v_dual_add_f32 v11, v12, v34 :: v_dual_add_f32 v24, v14, v24
	v_dual_sub_f32 v26, v32, v13 :: v_dual_sub_f32 v27, v15, v36
	v_fmamk_f32 v12, v17, 0xbf737871, v10
	v_sub_f32_e32 v28, v33, v31
	s_delay_alu instid0(VALU_DEP_2) | instskip(SKIP_2) | instid1(VALU_DEP_3)
	v_dual_sub_f32 v29, v36, v15 :: v_dual_fmac_f32 v12, 0xbf167918, v21
	v_fmac_f32_e32 v10, 0x3f737871, v17
	v_add_f32_e32 v25, v32, v13
	v_dual_add_f32 v11, v11, v35 :: v_dual_fmac_f32 v12, 0x3e9e377a, v24
	s_delay_alu instid0(VALU_DEP_3) | instskip(NEXT) | instid1(VALU_DEP_2)
	v_fmac_f32_e32 v10, 0x3f167918, v21
	v_dual_fmac_f32 v9, 0x3e9e377a, v16 :: v_dual_add_f32 v14, v11, v13
	s_delay_alu instid0(VALU_DEP_4) | instskip(SKIP_1) | instid1(VALU_DEP_4)
	v_fma_f32 v18, -0.5, v25, v18
	v_add_f32_e32 v11, v33, v36
	v_dual_fmac_f32 v10, 0x3e9e377a, v24 :: v_dual_sub_f32 v25, v35, v13
	v_sub_f32_e32 v24, v34, v32
	v_fmac_f32_e32 v5, 0x3e9e377a, v16
	v_fmamk_f32 v16, v21, 0x3f737871, v18
	v_dual_fmac_f32 v18, 0xbf737871, v21 :: v_dual_add_f32 v21, v19, v31
	v_fma_f32 v11, -0.5, v11, v19
	v_add_f32_e32 v24, v24, v25
	s_delay_alu instid0(VALU_DEP_4) | instskip(NEXT) | instid1(VALU_DEP_4)
	v_fmac_f32_e32 v16, 0xbf167918, v17
	v_dual_fmac_f32 v18, 0x3f167918, v17 :: v_dual_sub_f32 v25, v34, v35
	s_delay_alu instid0(VALU_DEP_4) | instskip(SKIP_1) | instid1(VALU_DEP_4)
	v_fmamk_f32 v13, v26, 0x3f737871, v11
	v_add_f32_e32 v17, v21, v33
	v_dual_add_f32 v21, v31, v15 :: v_dual_fmac_f32 v16, 0x3e9e377a, v24
	s_delay_alu instid0(VALU_DEP_4) | instskip(NEXT) | instid1(VALU_DEP_3)
	v_fmac_f32_e32 v18, 0x3e9e377a, v24
	v_dual_fmac_f32 v11, 0xbf737871, v26 :: v_dual_add_f32 v24, v17, v36
	v_fmac_f32_e32 v13, 0x3f167918, v25
	s_delay_alu instid0(VALU_DEP_4) | instskip(SKIP_1) | instid1(VALU_DEP_4)
	v_fmac_f32_e32 v19, -0.5, v21
	v_sub_f32_e32 v21, v31, v33
	v_fmac_f32_e32 v11, 0xbf167918, v25
	v_add_f32_e32 v15, v24, v15
	s_delay_alu instid0(VALU_DEP_4) | instskip(SKIP_3) | instid1(VALU_DEP_4)
	v_fmamk_f32 v17, v25, 0xbf737871, v19
	v_fmac_f32_e32 v19, 0x3f737871, v25
	v_add_f32_e32 v21, v21, v27
	v_add_f32_e32 v25, v28, v29
	v_fmac_f32_e32 v17, 0x3f167918, v26
	s_delay_alu instid0(VALU_DEP_4) | instskip(NEXT) | instid1(VALU_DEP_4)
	v_fmac_f32_e32 v19, 0xbf167918, v26
	v_fmac_f32_e32 v13, 0x3e9e377a, v21
	;; [unrolled: 1-line block ×3, first 2 shown]
	s_delay_alu instid0(VALU_DEP_4) | instskip(NEXT) | instid1(VALU_DEP_4)
	v_fmac_f32_e32 v17, 0x3e9e377a, v25
	v_fmac_f32_e32 v19, 0x3e9e377a, v25
	ds_store_b64 v108, v[2:3] offset:2800
	ds_store_b64 v108, v[8:9] offset:5600
	;; [unrolled: 1-line block ×4, first 2 shown]
	ds_store_2addr_b64 v108, v[6:7], v[14:15] offset1:175
	ds_store_b64 v108, v[12:13] offset:4200
	ds_store_b64 v108, v[16:17] offset:7000
	;; [unrolled: 1-line block ×4, first 2 shown]
	global_wb scope:SCOPE_SE
	s_wait_dscnt 0x0
	s_barrier_signal -1
	s_barrier_wait -1
	global_inv scope:SCOPE_SE
	ds_load_2addr_b64 v[0:3], v108 offset1:175
	s_wait_dscnt 0x0
	v_mul_f32_e32 v4, v100, v1
	v_mul_f32_e32 v28, v92, v3
	s_delay_alu instid0(VALU_DEP_2) | instskip(SKIP_1) | instid1(VALU_DEP_3)
	v_fmac_f32_e32 v4, v99, v0
	v_mul_f32_e32 v0, v100, v0
	v_fmac_f32_e32 v28, v91, v2
	v_mul_f32_e32 v2, v92, v2
	s_delay_alu instid0(VALU_DEP_4) | instskip(NEXT) | instid1(VALU_DEP_4)
	v_cvt_f64_f32_e32 v[16:17], v4
	v_fma_f32 v18, v99, v1, -v0
	ds_load_2addr_b64 v[4:7], v20 offset0:60 offset1:235
	ds_load_2addr_b64 v[8:11], v23 offset0:26 offset1:201
	;; [unrolled: 1-line block ×3, first 2 shown]
	v_mad_co_u64_u32 v[20:21], null, s6, v80, 0
	v_cvt_f64_f32_e32 v[22:23], v18
	v_fma_f32 v2, v91, v3, -v2
	v_cvt_f64_f32_e32 v[28:29], v28
	s_delay_alu instid0(VALU_DEP_2)
	v_cvt_f64_f32_e32 v[2:3], v2
	s_wait_dscnt 0x2
	v_mul_f32_e32 v19, v96, v7
	v_mul_f32_e32 v24, v96, v6
	s_wait_dscnt 0x0
	v_mul_f32_e32 v32, v90, v13
	v_mul_f32_e32 v33, v90, v12
	v_dual_mul_f32 v34, v86, v11 :: v_dual_fmac_f32 v19, v95, v6
	v_mul_f32_e32 v36, v88, v15
	v_dual_mul_f32 v37, v88, v14 :: v_dual_mul_f32 v40, v94, v5
	v_fmac_f32_e32 v32, v89, v12
	v_fma_f32 v33, v89, v13, -v33
	v_dual_mul_f32 v41, v94, v4 :: v_dual_fmac_f32 v34, v85, v10
	v_fmac_f32_e32 v36, v87, v14
	v_fma_f32 v37, v87, v15, -v37
	v_fmac_f32_e32 v40, v93, v4
	s_wait_alu 0xfffe
	v_mul_f64_e32 v[0:1], s[2:3], v[16:17]
	v_fma_f32 v16, v95, v7, -v24
	v_cvt_f64_f32_e32 v[24:25], v19
	v_fma_f32 v41, v93, v5, -v41
	v_mad_co_u64_u32 v[6:7], null, s4, v107, 0
	v_mul_f64_e32 v[22:23], s[2:3], v[22:23]
	v_cvt_f64_f32_e32 v[26:27], v16
	ds_load_2addr_b64 v[16:19], v30 offset0:56 offset1:231
	v_mul_f32_e32 v30, v82, v9
	v_mul_f32_e32 v35, v86, v10
	v_mul_f64_e32 v[28:29], s[2:3], v[28:29]
	v_mul_f64_e32 v[2:3], s[2:3], v[2:3]
	s_delay_alu instid0(VALU_DEP_4) | instskip(SKIP_2) | instid1(VALU_DEP_1)
	v_fmac_f32_e32 v30, v81, v8
	s_wait_dscnt 0x0
	v_dual_mul_f32 v38, v84, v17 :: v_dual_mul_f32 v43, v98, v18
	v_fmac_f32_e32 v38, v83, v16
	v_mul_f32_e32 v16, v84, v16
	v_fma_f32 v35, v85, v11, -v35
	s_delay_alu instid0(VALU_DEP_4)
	v_fma_f32 v43, v97, v19, -v43
	v_cvt_f64_f32_e32 v[10:11], v34
	v_cvt_f64_f32_e32 v[38:39], v38
	v_fma_f32 v16, v83, v17, -v16
	v_cvt_f64_f32_e32 v[14:15], v35
	v_cvt_f64_f32_e32 v[34:35], v36
	;; [unrolled: 1-line block ×3, first 2 shown]
	v_mul_f64_e32 v[24:25], s[2:3], v[24:25]
	v_mad_co_u64_u32 v[44:45], null, s7, v80, v[21:22]
	v_mul_f32_e32 v42, v98, v19
	v_cvt_f64_f32_e32 v[4:5], v16
	v_cvt_f64_f32_e32 v[16:17], v40
	v_mul_f64_e32 v[26:27], s[2:3], v[26:27]
	v_cvt_f32_f64_e32 v0, v[0:1]
	v_cvt_f32_f64_e32 v1, v[22:23]
	v_mov_b32_e32 v21, v44
	v_dual_mul_f32 v31, v82, v8 :: v_dual_fmac_f32 v42, v97, v18
	v_cvt_f64_f32_e32 v[18:19], v41
	s_delay_alu instid0(VALU_DEP_3) | instskip(NEXT) | instid1(VALU_DEP_3)
	v_lshlrev_b64_e32 v[20:21], 3, v[20:21]
	v_fma_f32 v31, v81, v9, -v31
	v_cvt_f64_f32_e32 v[8:9], v30
	v_cvt_f64_f32_e32 v[40:41], v42
	;; [unrolled: 1-line block ×3, first 2 shown]
	s_delay_alu instid0(VALU_DEP_4)
	v_cvt_f64_f32_e32 v[12:13], v31
	v_cvt_f64_f32_e32 v[30:31], v32
	;; [unrolled: 1-line block ×3, first 2 shown]
	v_add_co_u32 v20, vcc_lo, s0, v20
	s_wait_alu 0xfffd
	v_add_co_ci_u32_e32 v21, vcc_lo, s1, v21, vcc_lo
	s_mul_u64 s[0:1], s[4:5], 0x1b58
	v_mul_f64_e32 v[10:11], s[2:3], v[10:11]
	v_mul_f64_e32 v[38:39], s[2:3], v[38:39]
	v_mul_f64_e32 v[14:15], s[2:3], v[14:15]
	v_mul_f64_e32 v[34:35], s[2:3], v[34:35]
	v_mul_f64_e32 v[36:37], s[2:3], v[36:37]
	v_mul_f64_e32 v[4:5], s[2:3], v[4:5]
	v_mul_f64_e32 v[16:17], s[2:3], v[16:17]
	v_mul_f64_e32 v[18:19], s[2:3], v[18:19]
	v_mad_co_u64_u32 v[45:46], null, s5, v107, v[7:8]
	v_mul_f64_e32 v[8:9], s[2:3], v[8:9]
	v_mul_f64_e32 v[40:41], s[2:3], v[40:41]
	;; [unrolled: 1-line block ×6, first 2 shown]
	v_mov_b32_e32 v7, v45
	s_movk_i32 s2, 0xea20
	s_mov_b32 s3, -1
	s_wait_alu 0xfffe
	s_mul_u64 s[2:3], s[4:5], s[2:3]
	v_lshlrev_b64_e32 v[6:7], 3, v[6:7]
	v_cvt_f32_f64_e32 v10, v[10:11]
	s_delay_alu instid0(VALU_DEP_2) | instskip(SKIP_1) | instid1(VALU_DEP_3)
	v_add_co_u32 v6, vcc_lo, v20, v6
	s_wait_alu 0xfffd
	v_add_co_ci_u32_e32 v7, vcc_lo, v21, v7, vcc_lo
	v_cvt_f32_f64_e32 v20, v[24:25]
	v_cvt_f32_f64_e32 v21, v[26:27]
	;; [unrolled: 1-line block ×4, first 2 shown]
	v_add_co_u32 v22, vcc_lo, v6, s0
	s_wait_alu 0xfffd
	v_add_co_ci_u32_e32 v23, vcc_lo, s1, v7, vcc_lo
	v_cvt_f32_f64_e32 v11, v[14:15]
	v_cvt_f32_f64_e32 v14, v[34:35]
	;; [unrolled: 1-line block ×7, first 2 shown]
	global_store_b64 v[6:7], v[0:1], off
	v_cvt_f32_f64_e32 v2, v[8:9]
	s_wait_alu 0xfffe
	v_add_co_u32 v8, vcc_lo, v22, s2
	v_cvt_f32_f64_e32 v3, v[12:13]
	v_cvt_f32_f64_e32 v12, v[30:31]
	;; [unrolled: 1-line block ×3, first 2 shown]
	s_wait_alu 0xfffd
	v_add_co_ci_u32_e32 v9, vcc_lo, s3, v23, vcc_lo
	v_cvt_f32_f64_e32 v16, v[40:41]
	v_cvt_f32_f64_e32 v17, v[42:43]
	v_add_co_u32 v18, vcc_lo, v8, s0
	s_wait_alu 0xfffd
	v_add_co_ci_u32_e32 v19, vcc_lo, s1, v9, vcc_lo
	s_delay_alu instid0(VALU_DEP_2) | instskip(SKIP_1) | instid1(VALU_DEP_2)
	v_add_co_u32 v28, vcc_lo, v18, s2
	s_wait_alu 0xfffd
	v_add_co_ci_u32_e32 v29, vcc_lo, s3, v19, vcc_lo
	s_delay_alu instid0(VALU_DEP_2) | instskip(SKIP_1) | instid1(VALU_DEP_2)
	v_add_co_u32 v0, vcc_lo, v28, s0
	s_wait_alu 0xfffd
	v_add_co_ci_u32_e32 v1, vcc_lo, s1, v29, vcc_lo
	global_store_b64 v[22:23], v[20:21], off
	v_add_co_u32 v6, vcc_lo, v0, s2
	s_wait_alu 0xfffd
	v_add_co_ci_u32_e32 v7, vcc_lo, s3, v1, vcc_lo
	global_store_b64 v[8:9], v[24:25], off
	;; [unrolled: 4-line block ×5, first 2 shown]
	global_store_b64 v[6:7], v[14:15], off
	global_store_b64 v[8:9], v[26:27], off
	;; [unrolled: 1-line block ×4, first 2 shown]
.LBB0_10:
	s_nop 0
	s_sendmsg sendmsg(MSG_DEALLOC_VGPRS)
	s_endpgm
	.section	.rodata,"a",@progbits
	.p2align	6, 0x0
	.amdhsa_kernel bluestein_single_back_len1750_dim1_sp_op_CI_CI
		.amdhsa_group_segment_fixed_size 14000
		.amdhsa_private_segment_fixed_size 0
		.amdhsa_kernarg_size 104
		.amdhsa_user_sgpr_count 2
		.amdhsa_user_sgpr_dispatch_ptr 0
		.amdhsa_user_sgpr_queue_ptr 0
		.amdhsa_user_sgpr_kernarg_segment_ptr 1
		.amdhsa_user_sgpr_dispatch_id 0
		.amdhsa_user_sgpr_private_segment_size 0
		.amdhsa_wavefront_size32 1
		.amdhsa_uses_dynamic_stack 0
		.amdhsa_enable_private_segment 0
		.amdhsa_system_sgpr_workgroup_id_x 1
		.amdhsa_system_sgpr_workgroup_id_y 0
		.amdhsa_system_sgpr_workgroup_id_z 0
		.amdhsa_system_sgpr_workgroup_info 0
		.amdhsa_system_vgpr_workitem_id 0
		.amdhsa_next_free_vgpr 177
		.amdhsa_next_free_sgpr 20
		.amdhsa_reserve_vcc 1
		.amdhsa_float_round_mode_32 0
		.amdhsa_float_round_mode_16_64 0
		.amdhsa_float_denorm_mode_32 3
		.amdhsa_float_denorm_mode_16_64 3
		.amdhsa_fp16_overflow 0
		.amdhsa_workgroup_processor_mode 1
		.amdhsa_memory_ordered 1
		.amdhsa_forward_progress 0
		.amdhsa_round_robin_scheduling 0
		.amdhsa_exception_fp_ieee_invalid_op 0
		.amdhsa_exception_fp_denorm_src 0
		.amdhsa_exception_fp_ieee_div_zero 0
		.amdhsa_exception_fp_ieee_overflow 0
		.amdhsa_exception_fp_ieee_underflow 0
		.amdhsa_exception_fp_ieee_inexact 0
		.amdhsa_exception_int_div_zero 0
	.end_amdhsa_kernel
	.text
.Lfunc_end0:
	.size	bluestein_single_back_len1750_dim1_sp_op_CI_CI, .Lfunc_end0-bluestein_single_back_len1750_dim1_sp_op_CI_CI
                                        ; -- End function
	.section	.AMDGPU.csdata,"",@progbits
; Kernel info:
; codeLenInByte = 12736
; NumSgprs: 22
; NumVgprs: 177
; ScratchSize: 0
; MemoryBound: 0
; FloatMode: 240
; IeeeMode: 1
; LDSByteSize: 14000 bytes/workgroup (compile time only)
; SGPRBlocks: 2
; VGPRBlocks: 22
; NumSGPRsForWavesPerEU: 22
; NumVGPRsForWavesPerEU: 177
; Occupancy: 8
; WaveLimiterHint : 1
; COMPUTE_PGM_RSRC2:SCRATCH_EN: 0
; COMPUTE_PGM_RSRC2:USER_SGPR: 2
; COMPUTE_PGM_RSRC2:TRAP_HANDLER: 0
; COMPUTE_PGM_RSRC2:TGID_X_EN: 1
; COMPUTE_PGM_RSRC2:TGID_Y_EN: 0
; COMPUTE_PGM_RSRC2:TGID_Z_EN: 0
; COMPUTE_PGM_RSRC2:TIDIG_COMP_CNT: 0
	.text
	.p2alignl 7, 3214868480
	.fill 96, 4, 3214868480
	.type	__hip_cuid_2c4c8fa6a6618add,@object ; @__hip_cuid_2c4c8fa6a6618add
	.section	.bss,"aw",@nobits
	.globl	__hip_cuid_2c4c8fa6a6618add
__hip_cuid_2c4c8fa6a6618add:
	.byte	0                               ; 0x0
	.size	__hip_cuid_2c4c8fa6a6618add, 1

	.ident	"AMD clang version 19.0.0git (https://github.com/RadeonOpenCompute/llvm-project roc-6.4.0 25133 c7fe45cf4b819c5991fe208aaa96edf142730f1d)"
	.section	".note.GNU-stack","",@progbits
	.addrsig
	.addrsig_sym __hip_cuid_2c4c8fa6a6618add
	.amdgpu_metadata
---
amdhsa.kernels:
  - .args:
      - .actual_access:  read_only
        .address_space:  global
        .offset:         0
        .size:           8
        .value_kind:     global_buffer
      - .actual_access:  read_only
        .address_space:  global
        .offset:         8
        .size:           8
        .value_kind:     global_buffer
      - .actual_access:  read_only
        .address_space:  global
        .offset:         16
        .size:           8
        .value_kind:     global_buffer
      - .actual_access:  read_only
        .address_space:  global
        .offset:         24
        .size:           8
        .value_kind:     global_buffer
      - .actual_access:  read_only
        .address_space:  global
        .offset:         32
        .size:           8
        .value_kind:     global_buffer
      - .offset:         40
        .size:           8
        .value_kind:     by_value
      - .address_space:  global
        .offset:         48
        .size:           8
        .value_kind:     global_buffer
      - .address_space:  global
        .offset:         56
        .size:           8
        .value_kind:     global_buffer
      - .address_space:  global
        .offset:         64
        .size:           8
        .value_kind:     global_buffer
      - .address_space:  global
        .offset:         72
        .size:           8
        .value_kind:     global_buffer
      - .offset:         80
        .size:           4
        .value_kind:     by_value
      - .address_space:  global
        .offset:         88
        .size:           8
        .value_kind:     global_buffer
      - .address_space:  global
        .offset:         96
        .size:           8
        .value_kind:     global_buffer
    .group_segment_fixed_size: 14000
    .kernarg_segment_align: 8
    .kernarg_segment_size: 104
    .language:       OpenCL C
    .language_version:
      - 2
      - 0
    .max_flat_workgroup_size: 175
    .name:           bluestein_single_back_len1750_dim1_sp_op_CI_CI
    .private_segment_fixed_size: 0
    .sgpr_count:     22
    .sgpr_spill_count: 0
    .symbol:         bluestein_single_back_len1750_dim1_sp_op_CI_CI.kd
    .uniform_work_group_size: 1
    .uses_dynamic_stack: false
    .vgpr_count:     177
    .vgpr_spill_count: 0
    .wavefront_size: 32
    .workgroup_processor_mode: 1
amdhsa.target:   amdgcn-amd-amdhsa--gfx1201
amdhsa.version:
  - 1
  - 2
...

	.end_amdgpu_metadata
